;; amdgpu-corpus repo=ROCm/rocFFT kind=compiled arch=gfx906 opt=O3
	.text
	.amdgcn_target "amdgcn-amd-amdhsa--gfx906"
	.amdhsa_code_object_version 6
	.protected	fft_rtc_fwd_len858_factors_13_11_6_wgs_234_tpt_78_halfLds_half_op_CI_CI_unitstride_sbrr_R2C_dirReg ; -- Begin function fft_rtc_fwd_len858_factors_13_11_6_wgs_234_tpt_78_halfLds_half_op_CI_CI_unitstride_sbrr_R2C_dirReg
	.globl	fft_rtc_fwd_len858_factors_13_11_6_wgs_234_tpt_78_halfLds_half_op_CI_CI_unitstride_sbrr_R2C_dirReg
	.p2align	8
	.type	fft_rtc_fwd_len858_factors_13_11_6_wgs_234_tpt_78_halfLds_half_op_CI_CI_unitstride_sbrr_R2C_dirReg,@function
fft_rtc_fwd_len858_factors_13_11_6_wgs_234_tpt_78_halfLds_half_op_CI_CI_unitstride_sbrr_R2C_dirReg: ; @fft_rtc_fwd_len858_factors_13_11_6_wgs_234_tpt_78_halfLds_half_op_CI_CI_unitstride_sbrr_R2C_dirReg
; %bb.0:
	v_mul_u32_u24_e32 v1, 0x349, v0
	s_load_dwordx4 s[8:11], s[4:5], 0x58
	s_load_dwordx4 s[12:15], s[4:5], 0x0
	;; [unrolled: 1-line block ×3, first 2 shown]
	v_lshrrev_b32_e32 v1, 16, v1
	v_mad_u64_u32 v[8:9], s[0:1], s6, 3, v[1:2]
	v_mov_b32_e32 v10, 0
	s_waitcnt lgkmcnt(0)
	v_cmp_lt_u64_e64 s[0:1], s[14:15], 2
	v_mov_b32_e32 v6, 0
	v_mov_b32_e32 v9, v10
	;; [unrolled: 1-line block ×5, first 2 shown]
	s_and_b64 vcc, exec, s[0:1]
	v_mov_b32_e32 v2, v7
	v_mov_b32_e32 v4, v9
	s_cbranch_vccnz .LBB0_8
; %bb.1:
	s_load_dwordx2 s[0:1], s[4:5], 0x10
	s_add_u32 s2, s18, 8
	s_addc_u32 s3, s19, 0
	s_add_u32 s6, s16, 8
	s_addc_u32 s7, s17, 0
	v_mov_b32_e32 v6, 0
	s_waitcnt lgkmcnt(0)
	s_add_u32 s20, s0, 8
	v_mov_b32_e32 v7, 0
	v_mov_b32_e32 v1, v6
	;; [unrolled: 1-line block ×3, first 2 shown]
	s_addc_u32 s21, s1, 0
	s_mov_b64 s[22:23], 1
	v_mov_b32_e32 v2, v7
	v_mov_b32_e32 v12, v8
.LBB0_2:                                ; =>This Inner Loop Header: Depth=1
	s_load_dwordx2 s[24:25], s[20:21], 0x0
                                        ; implicit-def: $vgpr3_vgpr4
	s_waitcnt lgkmcnt(0)
	v_or_b32_e32 v11, s25, v13
	v_cmp_ne_u64_e32 vcc, 0, v[10:11]
	s_and_saveexec_b64 s[0:1], vcc
	s_xor_b64 s[26:27], exec, s[0:1]
	s_cbranch_execz .LBB0_4
; %bb.3:                                ;   in Loop: Header=BB0_2 Depth=1
	v_cvt_f32_u32_e32 v3, s24
	v_cvt_f32_u32_e32 v4, s25
	s_sub_u32 s0, 0, s24
	s_subb_u32 s1, 0, s25
	v_mac_f32_e32 v3, 0x4f800000, v4
	v_rcp_f32_e32 v3, v3
	v_mul_f32_e32 v3, 0x5f7ffffc, v3
	v_mul_f32_e32 v4, 0x2f800000, v3
	v_trunc_f32_e32 v4, v4
	v_mac_f32_e32 v3, 0xcf800000, v4
	v_cvt_u32_f32_e32 v4, v4
	v_cvt_u32_f32_e32 v3, v3
	v_mul_lo_u32 v5, s0, v4
	v_mul_hi_u32 v9, s0, v3
	v_mul_lo_u32 v14, s1, v3
	v_mul_lo_u32 v11, s0, v3
	v_add_u32_e32 v5, v9, v5
	v_add_u32_e32 v5, v5, v14
	v_mul_hi_u32 v9, v3, v11
	v_mul_lo_u32 v14, v3, v5
	v_mul_hi_u32 v16, v3, v5
	v_mul_hi_u32 v15, v4, v11
	v_mul_lo_u32 v11, v4, v11
	v_mul_hi_u32 v17, v4, v5
	v_add_co_u32_e32 v9, vcc, v9, v14
	v_addc_co_u32_e32 v14, vcc, 0, v16, vcc
	v_mul_lo_u32 v5, v4, v5
	v_add_co_u32_e32 v9, vcc, v9, v11
	v_addc_co_u32_e32 v9, vcc, v14, v15, vcc
	v_addc_co_u32_e32 v11, vcc, 0, v17, vcc
	v_add_co_u32_e32 v5, vcc, v9, v5
	v_addc_co_u32_e32 v9, vcc, 0, v11, vcc
	v_add_co_u32_e32 v3, vcc, v3, v5
	v_addc_co_u32_e32 v4, vcc, v4, v9, vcc
	v_mul_lo_u32 v5, s0, v4
	v_mul_hi_u32 v9, s0, v3
	v_mul_lo_u32 v11, s1, v3
	v_mul_lo_u32 v14, s0, v3
	v_add_u32_e32 v5, v9, v5
	v_add_u32_e32 v5, v5, v11
	v_mul_lo_u32 v15, v3, v5
	v_mul_hi_u32 v16, v3, v14
	v_mul_hi_u32 v17, v3, v5
	;; [unrolled: 1-line block ×3, first 2 shown]
	v_mul_lo_u32 v14, v4, v14
	v_mul_hi_u32 v9, v4, v5
	v_add_co_u32_e32 v15, vcc, v16, v15
	v_addc_co_u32_e32 v16, vcc, 0, v17, vcc
	v_mul_lo_u32 v5, v4, v5
	v_add_co_u32_e32 v14, vcc, v15, v14
	v_addc_co_u32_e32 v11, vcc, v16, v11, vcc
	v_addc_co_u32_e32 v9, vcc, 0, v9, vcc
	v_add_co_u32_e32 v5, vcc, v11, v5
	v_addc_co_u32_e32 v9, vcc, 0, v9, vcc
	v_add_co_u32_e32 v5, vcc, v3, v5
	v_addc_co_u32_e32 v9, vcc, v4, v9, vcc
	v_mad_u64_u32 v[3:4], s[0:1], v12, v9, 0
	v_mul_hi_u32 v11, v12, v5
	v_mad_u64_u32 v[14:15], s[0:1], v13, v9, 0
	v_add_co_u32_e32 v11, vcc, v11, v3
	v_addc_co_u32_e32 v16, vcc, 0, v4, vcc
	v_mad_u64_u32 v[3:4], s[0:1], v13, v5, 0
	v_add_co_u32_e32 v3, vcc, v11, v3
	v_addc_co_u32_e32 v3, vcc, v16, v4, vcc
	v_addc_co_u32_e32 v4, vcc, 0, v15, vcc
	v_add_co_u32_e32 v5, vcc, v3, v14
	v_addc_co_u32_e32 v9, vcc, 0, v4, vcc
	v_mul_lo_u32 v11, s25, v5
	v_mul_lo_u32 v14, s24, v9
	v_mad_u64_u32 v[3:4], s[0:1], s24, v5, 0
	v_add3_u32 v4, v4, v14, v11
	v_sub_u32_e32 v11, v13, v4
	v_mov_b32_e32 v14, s25
	v_sub_co_u32_e32 v3, vcc, v12, v3
	v_subb_co_u32_e64 v11, s[0:1], v11, v14, vcc
	v_subrev_co_u32_e64 v14, s[0:1], s24, v3
	v_subbrev_co_u32_e64 v11, s[0:1], 0, v11, s[0:1]
	v_cmp_le_u32_e64 s[0:1], s25, v11
	v_cndmask_b32_e64 v15, 0, -1, s[0:1]
	v_cmp_le_u32_e64 s[0:1], s24, v14
	v_cndmask_b32_e64 v14, 0, -1, s[0:1]
	v_cmp_eq_u32_e64 s[0:1], s25, v11
	v_cndmask_b32_e64 v11, v15, v14, s[0:1]
	v_add_co_u32_e64 v14, s[0:1], 2, v5
	v_addc_co_u32_e64 v15, s[0:1], 0, v9, s[0:1]
	v_add_co_u32_e64 v16, s[0:1], 1, v5
	v_addc_co_u32_e64 v17, s[0:1], 0, v9, s[0:1]
	v_subb_co_u32_e32 v4, vcc, v13, v4, vcc
	v_cmp_ne_u32_e64 s[0:1], 0, v11
	v_cmp_le_u32_e32 vcc, s25, v4
	v_cndmask_b32_e64 v11, v17, v15, s[0:1]
	v_cndmask_b32_e64 v15, 0, -1, vcc
	v_cmp_le_u32_e32 vcc, s24, v3
	v_cndmask_b32_e64 v3, 0, -1, vcc
	v_cmp_eq_u32_e32 vcc, s25, v4
	v_cndmask_b32_e32 v3, v15, v3, vcc
	v_cmp_ne_u32_e32 vcc, 0, v3
	v_cndmask_b32_e64 v3, v16, v14, s[0:1]
	v_cndmask_b32_e32 v4, v9, v11, vcc
	v_cndmask_b32_e32 v3, v5, v3, vcc
.LBB0_4:                                ;   in Loop: Header=BB0_2 Depth=1
	s_andn2_saveexec_b64 s[0:1], s[26:27]
	s_cbranch_execz .LBB0_6
; %bb.5:                                ;   in Loop: Header=BB0_2 Depth=1
	v_cvt_f32_u32_e32 v3, s24
	s_sub_i32 s26, 0, s24
	v_rcp_iflag_f32_e32 v3, v3
	v_mul_f32_e32 v3, 0x4f7ffffe, v3
	v_cvt_u32_f32_e32 v3, v3
	v_mul_lo_u32 v4, s26, v3
	v_mul_hi_u32 v4, v3, v4
	v_add_u32_e32 v3, v3, v4
	v_mul_hi_u32 v3, v12, v3
	v_mul_lo_u32 v4, v3, s24
	v_add_u32_e32 v5, 1, v3
	v_sub_u32_e32 v4, v12, v4
	v_subrev_u32_e32 v9, s24, v4
	v_cmp_le_u32_e32 vcc, s24, v4
	v_cndmask_b32_e32 v4, v4, v9, vcc
	v_cndmask_b32_e32 v3, v3, v5, vcc
	v_add_u32_e32 v5, 1, v3
	v_cmp_le_u32_e32 vcc, s24, v4
	v_cndmask_b32_e32 v3, v3, v5, vcc
	v_mov_b32_e32 v4, v10
.LBB0_6:                                ;   in Loop: Header=BB0_2 Depth=1
	s_or_b64 exec, exec, s[0:1]
	v_mul_lo_u32 v5, v4, s24
	v_mul_lo_u32 v9, v3, s25
	v_mad_u64_u32 v[14:15], s[0:1], v3, s24, 0
	s_load_dwordx2 s[0:1], s[6:7], 0x0
	s_load_dwordx2 s[24:25], s[2:3], 0x0
	v_add3_u32 v5, v15, v9, v5
	v_sub_co_u32_e32 v9, vcc, v12, v14
	v_subb_co_u32_e32 v5, vcc, v13, v5, vcc
	s_waitcnt lgkmcnt(0)
	v_mul_lo_u32 v11, s0, v5
	v_mul_lo_u32 v12, s1, v9
	v_mad_u64_u32 v[6:7], s[0:1], s0, v9, v[6:7]
	s_add_u32 s22, s22, 1
	s_addc_u32 s23, s23, 0
	s_add_u32 s2, s2, 8
	v_mul_lo_u32 v5, s24, v5
	v_mul_lo_u32 v13, s25, v9
	v_mad_u64_u32 v[1:2], s[0:1], s24, v9, v[1:2]
	v_add3_u32 v7, v12, v7, v11
	s_addc_u32 s3, s3, 0
	v_mov_b32_e32 v11, s14
	s_add_u32 s6, s6, 8
	v_mov_b32_e32 v12, s15
	s_addc_u32 s7, s7, 0
	v_cmp_ge_u64_e32 vcc, s[22:23], v[11:12]
	s_add_u32 s20, s20, 8
	v_add3_u32 v2, v13, v2, v5
	s_addc_u32 s21, s21, 0
	s_cbranch_vccnz .LBB0_8
; %bb.7:                                ;   in Loop: Header=BB0_2 Depth=1
	v_mov_b32_e32 v13, v4
	v_mov_b32_e32 v12, v3
	s_branch .LBB0_2
.LBB0_8:
	s_mov_b32 s2, 0xaaaaaaab
	s_load_dwordx2 s[0:1], s[4:5], 0x28
	v_mul_hi_u32 v5, v8, s2
	s_lshl_b64 s[6:7], s[14:15], 3
	s_add_u32 s2, s18, s6
	s_addc_u32 s3, s19, s7
	v_lshrrev_b32_e32 v5, 1, v5
	v_lshl_add_u32 v5, v5, 1, v5
	s_waitcnt lgkmcnt(0)
	v_cmp_gt_u64_e32 vcc, s[0:1], v[3:4]
	v_cmp_le_u64_e64 s[0:1], s[0:1], v[3:4]
	v_sub_u32_e32 v8, v8, v5
                                        ; implicit-def: $vgpr5
	s_and_saveexec_b64 s[4:5], s[0:1]
	s_xor_b64 s[0:1], exec, s[4:5]
; %bb.9:
	s_mov_b32 s4, 0x3483484
	v_mul_hi_u32 v5, v0, s4
                                        ; implicit-def: $vgpr6_vgpr7
	v_mul_u32_u24_e32 v5, 0x4e, v5
	v_sub_u32_e32 v5, v0, v5
                                        ; implicit-def: $vgpr0
; %bb.10:
	s_or_saveexec_b64 s[4:5], s[0:1]
	v_mul_u32_u24_e32 v8, 0x35b, v8
	v_lshlrev_b32_e32 v24, 2, v8
	s_xor_b64 exec, exec, s[4:5]
	s_cbranch_execz .LBB0_12
; %bb.11:
	s_add_u32 s0, s16, s6
	s_addc_u32 s1, s17, s7
	s_load_dwordx2 s[0:1], s[0:1], 0x0
	s_mov_b32 s6, 0x3483484
	v_mul_hi_u32 v5, v0, s6
	v_lshlrev_b64 v[6:7], 2, v[6:7]
	s_waitcnt lgkmcnt(0)
	v_mul_lo_u32 v10, s1, v3
	v_mul_lo_u32 v11, s0, v4
	v_mad_u64_u32 v[8:9], s[0:1], s0, v3, 0
	v_mul_u32_u24_e32 v5, 0x4e, v5
	v_sub_u32_e32 v5, v0, v5
	v_add3_u32 v9, v9, v11, v10
	v_lshlrev_b64 v[8:9], 2, v[8:9]
	v_mov_b32_e32 v0, s9
	v_add_co_u32_e64 v8, s[0:1], s8, v8
	v_addc_co_u32_e64 v0, s[0:1], v0, v9, s[0:1]
	v_add_co_u32_e64 v6, s[0:1], v8, v6
	v_addc_co_u32_e64 v0, s[0:1], v0, v7, s[0:1]
	v_lshlrev_b32_e32 v8, 2, v5
	v_add_co_u32_e64 v6, s[0:1], v6, v8
	v_addc_co_u32_e64 v7, s[0:1], 0, v0, s[0:1]
	global_load_dword v0, v[6:7], off
	global_load_dword v9, v[6:7], off offset:312
	global_load_dword v10, v[6:7], off offset:624
	;; [unrolled: 1-line block ×10, first 2 shown]
	v_add3_u32 v6, 0, v24, v8
	v_add_u32_e32 v7, 0x400, v6
	v_add_u32_e32 v8, 0x600, v6
	;; [unrolled: 1-line block ×3, first 2 shown]
	s_waitcnt vmcnt(9)
	ds_write2_b32 v6, v0, v9 offset1:78
	s_waitcnt vmcnt(7)
	ds_write2_b32 v6, v10, v11 offset0:156 offset1:234
	s_waitcnt vmcnt(5)
	ds_write2_b32 v7, v12, v13 offset0:56 offset1:134
	s_waitcnt vmcnt(3)
	ds_write2_b32 v8, v14, v15 offset0:84 offset1:162
	s_waitcnt vmcnt(1)
	ds_write2_b32 v19, v16, v17 offset0:112 offset1:190
	s_waitcnt vmcnt(0)
	ds_write_b32 v6, v18 offset:3120
.LBB0_12:
	s_or_b64 exec, exec, s[4:5]
	v_lshlrev_b32_e32 v21, 2, v5
	v_add_u32_e32 v34, 0, v21
	v_add_u32_e32 v22, v34, v24
	;; [unrolled: 1-line block ×3, first 2 shown]
	s_waitcnt lgkmcnt(0)
	s_barrier
	ds_read2_b32 v[8:9], v6 offset0:86 offset1:152
	ds_read2_b32 v[14:15], v22 offset0:66 offset1:132
	v_add_u32_e32 v0, 0, v24
	v_add_u32_e32 v20, v0, v21
	ds_read_b32 v29, v20
	s_mov_b32 s20, 0xba95
	s_waitcnt lgkmcnt(1)
	v_pk_add_f16 v30, v14, v9 neg_lo:[0,1] neg_hi:[0,1]
	v_pk_add_f16 v32, v9, v14
	s_movk_i32 s7, 0x388b
	v_mul_f16_sdwa v50, v30, s20 dst_sel:DWORD dst_unused:UNUSED_PAD src0_sel:WORD_1 src1_sel:DWORD
	v_pk_add_f16 v31, v15, v8 neg_lo:[0,1] neg_hi:[0,1]
	s_mov_b32 s6, 0xbb7b
	v_fma_f16 v7, v32, s7, v50
	v_pk_add_f16 v33, v8, v15
	s_mov_b32 s8, 0xb5ac
	v_mul_f16_sdwa v51, v31, s6 dst_sel:DWORD dst_unused:UNUSED_PAD src0_sel:WORD_1 src1_sel:DWORD
	s_waitcnt lgkmcnt(0)
	v_add_f16_e32 v7, v29, v7
	v_fma_f16 v10, v33, s8, v51
	v_lshrrev_b32_e32 v44, 16, v32
	v_mul_f16_e32 v53, 0xba95, v30
	v_add_f16_e32 v7, v10, v7
	v_fma_f16 v10, v44, s7, -v53
	v_add_u32_e32 v25, 0x200, v22
	v_add_f16_sdwa v12, v29, v10 dst_sel:DWORD dst_unused:UNUSED_PAD src0_sel:WORD_1 src1_sel:DWORD
	v_add_u32_e32 v27, 0x800, v22
	ds_read2_b32 v[16:17], v25 offset0:70 offset1:136
	ds_read2_b32 v[10:11], v27 offset0:82 offset1:148
	v_lshrrev_b32_e32 v45, 16, v33
	v_mul_f16_e32 v54, 0xbb7b, v31
	s_mov_b32 s9, 0xb3a8
	v_fma_f16 v13, v45, s8, -v54
	s_waitcnt lgkmcnt(0)
	v_pk_add_f16 v35, v16, v11 neg_lo:[0,1] neg_hi:[0,1]
	s_mov_b32 s14, 0xbbc4
	v_pk_add_f16 v37, v11, v16
	v_mul_f16_sdwa v52, v35, s9 dst_sel:DWORD dst_unused:UNUSED_PAD src0_sel:WORD_1 src1_sel:DWORD
	v_add_f16_e32 v12, v13, v12
	v_fma_f16 v13, v37, s14, v52
	v_lshrrev_b32_e32 v46, 16, v37
	v_mul_f16_e32 v56, 0xb3a8, v35
	s_movk_i32 s0, 0x394e
	v_pk_add_f16 v36, v17, v10 neg_lo:[0,1] neg_hi:[0,1]
	v_add_f16_e32 v7, v13, v7
	v_fma_f16 v13, v46, s14, -v56
	s_mov_b32 s15, 0xb9fd
	v_pk_add_f16 v38, v10, v17
	v_mul_f16_sdwa v55, v36, s0 dst_sel:DWORD dst_unused:UNUSED_PAD src0_sel:WORD_1 src1_sel:DWORD
	v_add_f16_e32 v23, v13, v12
	v_fma_f16 v12, v38, s15, v55
	v_add_u32_e32 v28, 0x400, v22
	v_add_f16_e32 v7, v12, v7
	v_add_u32_e32 v26, 0x600, v22
	ds_read2_b32 v[18:19], v28 offset0:74 offset1:140
	ds_read2_b32 v[12:13], v26 offset0:78 offset1:144
	v_lshrrev_b32_e32 v47, 16, v38
	v_mul_f16_e32 v58, 0x394e, v36
	v_fma_f16 v39, v47, s15, -v58
	v_add_f16_e32 v23, v39, v23
	s_movk_i32 s16, 0x3bf1
	s_waitcnt lgkmcnt(0)
	v_pk_add_f16 v39, v18, v13 neg_lo:[0,1] neg_hi:[0,1]
	s_movk_i32 s17, 0x2fb7
	v_pk_add_f16 v41, v13, v18
	v_mul_f16_sdwa v57, v39, s16 dst_sel:DWORD dst_unused:UNUSED_PAD src0_sel:WORD_1 src1_sel:DWORD
	v_fma_f16 v40, v41, s17, v57
	v_lshrrev_b32_e32 v48, 16, v41
	v_mul_f16_e32 v60, 0x3bf1, v39
	v_add_f16_e32 v7, v40, v7
	v_fma_f16 v40, v48, s17, -v60
	v_add_f16_e32 v23, v40, v23
	v_pk_add_f16 v42, v12, v19
	v_pk_add_f16 v40, v19, v12 neg_lo:[0,1] neg_hi:[0,1]
	s_movk_i32 s19, 0x3b15
	v_lshrrev_b32_e32 v49, 16, v42
	v_mul_f16_e32 v61, 0x3770, v40
	s_movk_i32 s18, 0x3770
	v_fma_f16 v43, v49, s19, -v61
	v_mul_f16_sdwa v59, v40, s18 dst_sel:DWORD dst_unused:UNUSED_PAD src0_sel:WORD_1 src1_sel:DWORD
	v_add_f16_e32 v23, v43, v23
	v_fma_f16 v43, v42, s19, v59
	s_movk_i32 s0, 0x42
	v_add_f16_e32 v7, v43, v7
	v_cmp_gt_u32_e64 s[0:1], s0, v5
	s_barrier
	s_and_saveexec_b64 s[4:5], s[0:1]
	s_cbranch_execz .LBB0_14
; %bb.13:
	v_mul_f16_e32 v62, 0xb94e, v30
	v_fma_f16 v43, v44, s15, v62
	v_mul_f16_e32 v63, 0x3bf1, v31
	v_add_f16_sdwa v43, v29, v43 dst_sel:DWORD dst_unused:UNUSED_PAD src0_sel:WORD_1 src1_sel:DWORD
	v_fma_f16 v64, v45, s17, v63
	v_add_f16_e32 v43, v64, v43
	v_mul_f16_e32 v64, 0xba95, v35
	v_fma_f16 v65, v46, s7, v64
	v_add_f16_e32 v43, v65, v43
	v_mul_f16_e32 v65, 0x33a8, v36
	;; [unrolled: 3-line block ×4, first 2 shown]
	s_mov_b32 s0, 0xb94e
	v_fma_f16 v68, v40, s6, v43
	v_add_f16_e32 v67, v68, v67
	v_mul_f16_sdwa v68, v30, s0 dst_sel:DWORD dst_unused:UNUSED_PAD src0_sel:WORD_1 src1_sel:DWORD
	v_pk_add_f16 v14, v29, v14
	v_fma_f16 v69, v32, s15, -v68
	v_pk_add_f16 v14, v14, v15
	v_mul_f16_sdwa v15, v31, s16 dst_sel:DWORD dst_unused:UNUSED_PAD src0_sel:WORD_1 src1_sel:DWORD
	v_add_f16_e32 v69, v29, v69
	v_fma_f16 v70, v33, s17, -v15
	v_add_f16_e32 v69, v70, v69
	v_mul_f16_sdwa v70, v35, s20 dst_sel:DWORD dst_unused:UNUSED_PAD src0_sel:WORD_1 src1_sel:DWORD
	s_movk_i32 s1, 0x33a8
	v_fma_f16 v71, v37, s7, -v70
	v_pk_add_f16 v14, v14, v16
	v_mul_f16_sdwa v16, v36, s1 dst_sel:DWORD dst_unused:UNUSED_PAD src0_sel:WORD_1 src1_sel:DWORD
	v_add_f16_e32 v69, v71, v69
	v_pk_add_f16 v14, v14, v17
	v_fma_f16 v17, v38, s14, -v16
	v_add_f16_e32 v17, v17, v69
	v_mul_f16_sdwa v69, v39, s18 dst_sel:DWORD dst_unused:UNUSED_PAD src0_sel:WORD_1 src1_sel:DWORD
	v_fma_f16 v71, v41, s19, -v69
	v_pk_add_f16 v14, v14, v18
	v_mul_f16_sdwa v18, v40, s6 dst_sel:DWORD dst_unused:UNUSED_PAD src0_sel:WORD_1 src1_sel:DWORD
	v_add_f16_e32 v17, v71, v17
	v_pk_add_f16 v14, v14, v19
	v_fma_f16 v19, v42, s8, -v18
	v_add_f16_e32 v17, v19, v17
	v_mul_f16_e32 v19, 0xbb7b, v30
	v_fma_f16 v71, v44, s8, v19
	v_mul_f16_e32 v72, 0x394e, v31
	v_add_f16_sdwa v71, v29, v71 dst_sel:DWORD dst_unused:UNUSED_PAD src0_sel:WORD_1 src1_sel:DWORD
	v_fma_f16 v73, v45, s15, v72
	v_add_f16_e32 v71, v73, v71
	v_mul_f16_e32 v73, 0x3770, v35
	v_fma_f16 v74, v46, s19, v73
	v_add_f16_e32 v71, v74, v71
	v_mul_f16_e32 v74, 0xbbf1, v36
	;; [unrolled: 3-line block ×4, first 2 shown]
	v_fma_f16 v77, v49, s7, v76
	s_mov_b32 s1, 0xbbf1
	v_add_f16_e32 v71, v77, v71
	v_mul_f16_sdwa v77, v30, s1 dst_sel:DWORD dst_unused:UNUSED_PAD src0_sel:WORD_1 src1_sel:DWORD
	v_fma_f16 v78, v32, s17, -v77
	v_mul_f16_sdwa v79, v31, s9 dst_sel:DWORD dst_unused:UNUSED_PAD src0_sel:WORD_1 src1_sel:DWORD
	v_add_f16_e32 v78, v29, v78
	v_fma_f16 v80, v33, s14, -v79
	s_movk_i32 s21, 0x3b7b
	v_add_f16_e32 v78, v80, v78
	v_mul_f16_sdwa v80, v35, s21 dst_sel:DWORD dst_unused:UNUSED_PAD src0_sel:WORD_1 src1_sel:DWORD
	v_fma_f16 v81, v37, s8, -v80
	v_add_f16_e32 v78, v81, v78
	v_mul_f16_sdwa v81, v36, s18 dst_sel:DWORD dst_unused:UNUSED_PAD src0_sel:WORD_1 src1_sel:DWORD
	v_fma_f16 v82, v38, s19, -v81
	v_add_f16_e32 v78, v82, v78
	v_mul_f16_sdwa v82, v39, s20 dst_sel:DWORD dst_unused:UNUSED_PAD src0_sel:WORD_1 src1_sel:DWORD
	v_fma_f16 v83, v41, s7, -v82
	v_add_f16_e32 v78, v83, v78
	v_mul_f16_sdwa v83, v40, s0 dst_sel:DWORD dst_unused:UNUSED_PAD src0_sel:WORD_1 src1_sel:DWORD
	v_fma_f16 v84, v42, s15, -v83
	v_add_f16_e32 v78, v84, v78
	v_mul_f16_e32 v84, 0x388b, v44
	v_add_f16_e32 v53, v53, v84
	v_mul_f16_e32 v84, 0xb5ac, v45
	v_add_f16_e32 v54, v54, v84
	v_add_f16_sdwa v53, v29, v53 dst_sel:DWORD dst_unused:UNUSED_PAD src0_sel:WORD_1 src1_sel:DWORD
	v_add_f16_e32 v53, v54, v53
	v_mul_f16_e32 v54, 0xbbc4, v46
	v_add_f16_e32 v54, v56, v54
	v_add_f16_e32 v53, v54, v53
	v_mul_f16_e32 v54, 0xb9fd, v47
	v_add_f16_e32 v54, v58, v54
	;; [unrolled: 3-line block ×4, first 2 shown]
	v_add_f16_e32 v53, v54, v53
	v_mul_f16_e32 v54, 0x388b, v32
	v_sub_f16_e32 v50, v54, v50
	v_mul_f16_e32 v54, 0xb5ac, v33
	v_sub_f16_e32 v51, v54, v51
	v_add_f16_e32 v50, v29, v50
	v_add_f16_e32 v50, v51, v50
	v_mul_f16_e32 v51, 0xbbc4, v37
	v_sub_f16_e32 v51, v51, v52
	v_add_f16_e32 v50, v51, v50
	v_mul_f16_e32 v51, 0xb9fd, v38
	v_sub_f16_e32 v51, v51, v55
	;; [unrolled: 3-line block ×4, first 2 shown]
	v_add_f16_e32 v50, v51, v50
	v_mul_f16_e32 v51, 0xb770, v30
	v_fma_f16 v52, v44, s19, v51
	v_mul_f16_e32 v54, 0xba95, v31
	v_add_f16_sdwa v52, v29, v52 dst_sel:DWORD dst_unused:UNUSED_PAD src0_sel:WORD_1 src1_sel:DWORD
	v_fma_f16 v55, v45, s7, v54
	v_add_f16_e32 v52, v55, v52
	v_mul_f16_e32 v55, 0xbbf1, v35
	v_fma_f16 v56, v46, s17, v55
	v_add_f16_e32 v52, v56, v52
	v_mul_f16_e32 v56, 0xbb7b, v36
	;; [unrolled: 3-line block ×4, first 2 shown]
	v_fma_f16 v62, v44, s15, -v62
	v_fma_f16 v59, v49, s14, v58
	s_mov_b32 s21, 0xb770
	v_add_f16_sdwa v62, v29, v62 dst_sel:DWORD dst_unused:UNUSED_PAD src0_sel:WORD_1 src1_sel:DWORD
	v_fma_f16 v63, v45, s17, -v63
	v_add_f16_e32 v52, v59, v52
	v_mul_f16_sdwa v59, v30, s21 dst_sel:DWORD dst_unused:UNUSED_PAD src0_sel:WORD_1 src1_sel:DWORD
	v_add_f16_e32 v62, v63, v62
	v_fma_f16 v63, v46, s7, -v64
	v_fma_f16 v60, v32, s19, -v59
	v_mul_f16_sdwa v61, v31, s20 dst_sel:DWORD dst_unused:UNUSED_PAD src0_sel:WORD_1 src1_sel:DWORD
	v_add_f16_e32 v62, v63, v62
	v_fma_f16 v63, v47, s14, -v65
	v_add_f16_e32 v60, v29, v60
	v_fma_f16 v84, v33, s7, -v61
	v_add_f16_e32 v62, v63, v62
	v_fma_f16 v63, v32, s15, v68
	v_add_f16_e32 v60, v84, v60
	v_mul_f16_sdwa v84, v35, s1 dst_sel:DWORD dst_unused:UNUSED_PAD src0_sel:WORD_1 src1_sel:DWORD
	v_add_f16_e32 v63, v29, v63
	v_fma_f16 v15, v33, s17, v15
	v_fma_f16 v85, v37, s17, -v84
	v_add_f16_e32 v15, v15, v63
	v_fma_f16 v63, v37, s7, v70
	v_add_f16_e32 v60, v85, v60
	v_mul_f16_sdwa v85, v36, s6 dst_sel:DWORD dst_unused:UNUSED_PAD src0_sel:WORD_1 src1_sel:DWORD
	v_add_f16_e32 v15, v63, v15
	v_fma_f16 v16, v38, s14, v16
	v_fma_f16 v59, v32, s19, v59
	v_fma_f16 v86, v38, s8, -v85
	v_add_f16_e32 v15, v16, v15
	v_fma_f16 v16, v41, s19, v69
	v_add_f16_e32 v59, v29, v59
	v_fma_f16 v61, v33, s7, v61
	v_add_f16_e32 v60, v86, v60
	v_mul_f16_sdwa v86, v39, s0 dst_sel:DWORD dst_unused:UNUSED_PAD src0_sel:WORD_1 src1_sel:DWORD
	v_add_f16_e32 v15, v16, v15
	v_fma_f16 v16, v42, s8, v18
	v_add_f16_e32 v59, v61, v59
	v_fma_f16 v64, v37, s17, v84
	v_pk_add_f16 v12, v14, v12
	v_fma_f16 v87, v41, s15, -v86
	v_add_f16_e32 v15, v16, v15
	v_fma_f16 v16, v44, s8, -v19
	v_fma_f16 v44, v44, s19, -v51
	v_add_f16_e32 v59, v64, v59
	v_fma_f16 v65, v38, s8, v85
	v_pk_add_f16 v12, v12, v13
	v_add_f16_e32 v60, v87, v60
	v_mul_f16_sdwa v87, v40, s9 dst_sel:DWORD dst_unused:UNUSED_PAD src0_sel:WORD_1 src1_sel:DWORD
	v_add_f16_sdwa v16, v29, v16 dst_sel:DWORD dst_unused:UNUSED_PAD src0_sel:WORD_1 src1_sel:DWORD
	v_fma_f16 v18, v45, s15, -v72
	v_fma_f16 v45, v45, s7, -v54
	v_add_f16_sdwa v44, v29, v44 dst_sel:DWORD dst_unused:UNUSED_PAD src0_sel:WORD_1 src1_sel:DWORD
	v_fma_f16 v63, v48, s19, -v66
	v_add_f16_e32 v59, v65, v59
	v_fma_f16 v66, v41, s15, v86
	v_pk_add_f16 v10, v12, v10
	v_fma_f16 v88, v42, s14, -v87
	v_add_f16_e32 v16, v18, v16
	v_fma_f16 v18, v46, s19, -v73
	s_mov_b32 s20, 0x2fb7b5ac
	v_add_f16_e32 v44, v45, v44
	v_fma_f16 v46, v46, s17, -v55
	v_add_f16_e32 v59, v66, v59
	v_fma_f16 v68, v42, s14, v87
	v_pk_add_f16 v10, v10, v11
	v_add_f16_e32 v60, v88, v60
	v_add_f16_e32 v16, v18, v16
	v_fma_f16 v18, v47, s17, -v74
	v_pk_mul_f16 v51, v32, s20
	s_mov_b32 s20, 0xbb7bbbf1
	s_mov_b32 s21, 0xbbc4b9fd
	v_add_f16_e32 v44, v46, v44
	v_fma_f16 v47, v47, s8, -v56
	v_add_f16_e32 v59, v68, v59
	v_mul_u32_u24_e32 v68, 48, v5
	v_pk_add_f16 v8, v10, v8
	v_add_f16_e32 v16, v18, v16
	v_fma_f16 v18, v48, s14, -v75
	v_pk_mul_f16 v54, v33, s21
	s_mov_b32 s21, 0x394eb3a8
	s_mov_b32 s22, 0xb5ac3b15
	v_add_f16_e32 v44, v47, v44
	v_fma_f16 v48, v48, s15, -v57
	v_pk_fma_f16 v57, v30, s20, v51 op_sel:[0,0,1] op_sel_hi:[1,1,0]
	v_pk_fma_f16 v51, v30, s20, v51 op_sel:[0,0,1] op_sel_hi:[1,1,0] neg_lo:[1,0,0] neg_hi:[1,0,0]
	v_add3_u32 v34, v34, v68, v24
	v_pk_add_f16 v8, v8, v9
	v_pack_b32_f16 v9, v60, v52
	s_mov_b32 s20, 0xffff
	v_add_f16_e32 v16, v18, v16
	v_fma_f16 v18, v49, s7, -v76
	v_pk_mul_f16 v45, v37, s22
	s_mov_b32 s22, 0x37703b7b
	s_mov_b32 s23, 0x3b152fb7
	v_add_f16_e32 v44, v48, v44
	v_fma_f16 v49, v49, s14, -v58
	v_pk_fma_f16 v58, v31, s21, v54 op_sel:[0,0,1] op_sel_hi:[1,1,0]
	v_pk_fma_f16 v54, v31, s21, v54 op_sel:[0,0,1] op_sel_hi:[1,1,0] neg_lo:[1,0,0] neg_hi:[1,0,0]
	ds_write2_b32 v34, v8, v9 offset1:1
	v_bfi_b32 v9, s20, v57, v51
	v_pk_mul_f16 v55, v38, s23
	s_mov_b32 s23, 0xbbf13770
	s_mov_b32 s24, 0x388bbbc4
	v_add_f16_e32 v44, v49, v44
	v_pk_fma_f16 v49, v35, s22, v45 op_sel:[0,0,1] op_sel_hi:[1,1,0]
	v_pk_fma_f16 v45, v35, s22, v45 op_sel:[0,0,1] op_sel_hi:[1,1,0] neg_lo:[1,0,0] neg_hi:[1,0,0]
	v_pk_add_f16 v9, v29, v9 op_sel:[1,0] op_sel_hi:[0,1]
	v_bfi_b32 v10, s20, v58, v54
	v_pk_mul_f16 v46, v41, s24
	s_mov_b32 s24, 0x33a8ba95
	v_pk_fma_f16 v61, v36, s23, v55 op_sel:[0,0,1] op_sel_hi:[1,1,0]
	v_pk_fma_f16 v55, v36, s23, v55 op_sel:[0,0,1] op_sel_hi:[1,1,0] neg_lo:[1,0,0] neg_hi:[1,0,0]
	v_pk_add_f16 v9, v10, v9
	v_bfi_b32 v10, s20, v49, v45
	s_mov_b32 s25, 0xb9fd388b
	v_pk_fma_f16 v64, v39, s24, v46 op_sel:[0,0,1] op_sel_hi:[1,1,0]
	v_pk_fma_f16 v46, v39, s24, v46 op_sel:[0,0,1] op_sel_hi:[1,1,0] neg_lo:[1,0,0] neg_hi:[1,0,0]
	v_pk_add_f16 v9, v10, v9
	v_bfi_b32 v10, s20, v61, v55
	v_pk_mul_f16 v56, v42, s25
	s_mov_b32 s25, 0x3a95b94e
	v_pk_add_f16 v9, v10, v9
	v_bfi_b32 v10, s20, v64, v46
	v_pk_fma_f16 v65, v40, s25, v56 op_sel:[0,0,1] op_sel_hi:[1,1,0] neg_lo:[1,0,0] neg_hi:[1,0,0]
	v_pk_add_f16 v9, v10, v9
	v_pk_fma_f16 v10, v40, s25, v56 op_sel:[0,0,1] op_sel_hi:[1,1,0]
	v_bfi_b32 v10, s20, v10, v65
	v_pk_add_f16 v9, v10, v9
	v_alignbit_b32 v10, v71, v9, 16
	v_pack_b32_f16 v9, v78, v9
	v_pack_b32_f16 v8, v50, v53
	ds_write2_b32 v34, v9, v10 offset0:3 offset1:4
	v_pack_b32_f16 v9, v17, v67
	ds_write2_b32 v34, v8, v9 offset0:2 offset1:5
	v_pk_mul_f16 v8, v32, s14 op_sel_hi:[1,0]
	v_pk_fma_f16 v9, v30, s9, v8 op_sel:[0,0,1] op_sel_hi:[1,0,0] neg_lo:[1,0,0] neg_hi:[1,0,0]
	v_pk_mul_f16 v10, v33, s19 op_sel_hi:[1,0]
	v_pk_add_f16 v9, v29, v9 op_sel:[1,0] op_sel_hi:[0,1]
	v_pk_fma_f16 v11, v31, s18, v10 op_sel:[0,0,1] op_sel_hi:[1,0,0] neg_lo:[1,0,0] neg_hi:[1,0,0]
	v_pk_add_f16 v9, v11, v9
	v_pk_mul_f16 v11, v37, s15 op_sel_hi:[1,0]
	v_pk_fma_f16 v12, v35, s0, v11 op_sel:[0,0,1] op_sel_hi:[1,0,0] neg_lo:[1,0,0] neg_hi:[1,0,0]
	s_movk_i32 s1, 0x3a95
	v_pk_add_f16 v9, v12, v9
	v_pk_mul_f16 v12, v38, s7 op_sel_hi:[1,0]
	v_pk_fma_f16 v8, v30, s9, v8 op_sel:[0,0,1] op_sel_hi:[1,0,0]
	v_add_f16_e32 v16, v18, v16
	v_fma_f16 v18, v32, s17, v77
	v_pk_fma_f16 v13, v36, s1, v12 op_sel:[0,0,1] op_sel_hi:[1,0,0] neg_lo:[1,0,0] neg_hi:[1,0,0]
	v_pk_add_f16 v8, v29, v8 op_sel:[1,0] op_sel_hi:[0,1]
	v_pk_fma_f16 v10, v31, s18, v10 op_sel:[0,0,1] op_sel_hi:[1,0,0]
	v_add_f16_e32 v18, v29, v18
	v_fma_f16 v19, v33, s14, v79
	v_pk_add_f16 v9, v13, v9
	v_pk_mul_f16 v13, v41, s8 op_sel_hi:[1,0]
	v_pk_add_f16 v8, v10, v8
	v_pk_fma_f16 v10, v35, s0, v11 op_sel:[0,0,1] op_sel_hi:[1,0,0]
	v_add_f16_e32 v18, v19, v18
	v_fma_f16 v19, v37, s8, v80
	v_pk_fma_f16 v14, v39, s6, v13 op_sel:[0,0,1] op_sel_hi:[1,0,0] neg_lo:[1,0,0] neg_hi:[1,0,0]
	v_pk_add_f16 v8, v10, v8
	v_pk_fma_f16 v10, v36, s1, v12 op_sel:[0,0,1] op_sel_hi:[1,0,0]
	v_add_f16_e32 v18, v19, v18
	v_fma_f16 v19, v38, s19, v81
	v_pk_add_f16 v48, v29, v57 op_sel:[1,0] op_sel_hi:[0,1]
	v_pk_add_f16 v9, v14, v9
	v_pk_mul_f16 v14, v42, s17 op_sel_hi:[1,0]
	v_pk_add_f16 v8, v10, v8
	v_pk_fma_f16 v10, v39, s6, v13 op_sel:[0,0,1] op_sel_hi:[1,0,0]
	v_add_f16_e32 v18, v19, v18
	v_fma_f16 v19, v41, s7, v82
	v_pk_add_f16 v48, v58, v48
	v_pk_fma_f16 v17, v40, s16, v14 op_sel:[0,0,1] op_sel_hi:[1,0,0] neg_lo:[1,0,0] neg_hi:[1,0,0]
	v_pk_add_f16 v8, v10, v8
	v_pk_fma_f16 v10, v40, s16, v14 op_sel:[0,0,1] op_sel_hi:[1,0,0]
	v_add_f16_e32 v18, v19, v18
	v_fma_f16 v19, v42, s15, v83
	v_pk_add_f16 v48, v49, v48
	v_pk_add_f16 v9, v17, v9
	;; [unrolled: 1-line block ×3, first 2 shown]
	v_add_f16_e32 v18, v19, v18
	v_mul_f16_e32 v19, 0xbb7b, v40
	v_pk_add_f16 v48, v61, v48
	v_alignbit_b32 v10, v9, v8, 16
	v_alignbit_b32 v8, v8, v9, 16
	v_add_f16_sdwa v66, v29, v51 dst_sel:DWORD dst_unused:UNUSED_PAD src0_sel:WORD_1 src1_sel:DWORD
	ds_write2_b32 v34, v8, v10 offset0:6 offset1:7
	v_bfi_b32 v8, s20, v19, v48
	v_pk_mul_f16 v47, v40, s25
	v_add_f16_e32 v66, v54, v66
	v_pk_add_f16 v8, v43, v8 neg_lo:[0,1] neg_hi:[0,1]
	v_pk_add_f16 v9, v64, v48
	v_add_f16_e32 v66, v45, v66
	v_bfi_b32 v8, s20, v8, v9
	v_pack_b32_f16 v9, v63, v56
	v_bfi_b32 v10, s20, v62, v47
	v_add_f16_e32 v66, v55, v66
	v_pk_add_f16 v9, v9, v10
	v_add_f16_e32 v66, v46, v66
	v_pk_add_f16 v8, v8, v9
	v_add_f16_e32 v66, v65, v66
	v_alignbit_b32 v9, v16, v8, 16
	v_pack_b32_f16 v8, v15, v8
	s_mov_b32 s0, 0x5040100
	ds_write2_b32 v34, v8, v9 offset0:8 offset1:9
	v_pack_b32_f16 v8, v18, v66
	v_perm_b32 v9, v23, v7, s0
	ds_write2_b32 v34, v8, v9 offset0:10 offset1:11
	v_pack_b32_f16 v8, v59, v44
	ds_write_b32 v34, v8 offset:48
.LBB0_14:
	s_or_b64 exec, exec, s[4:5]
	s_movk_i32 s0, 0x4f
	v_mul_lo_u16_sdwa v8, v5, s0 dst_sel:DWORD dst_unused:UNUSED_PAD src0_sel:BYTE_0 src1_sel:DWORD
	v_lshrrev_b16_e32 v35, 10, v8
	v_mul_lo_u16_e32 v8, 13, v35
	v_sub_u16_e32 v36, v5, v8
	v_mov_b32_e32 v8, 10
	v_mul_u32_u24_sdwa v8, v36, v8 dst_sel:DWORD dst_unused:UNUSED_PAD src0_sel:BYTE_0 src1_sel:DWORD
	v_lshlrev_b32_e32 v18, 2, v8
	s_load_dwordx2 s[2:3], s[2:3], 0x0
	s_waitcnt lgkmcnt(0)
	s_barrier
	global_load_dwordx4 v[8:11], v18, s[12:13]
	global_load_dwordx4 v[12:15], v18, s[12:13] offset:16
	global_load_dwordx2 v[16:17], v18, s[12:13] offset:32
	ds_read2_b32 v[18:19], v22 offset0:78 offset1:156
	ds_read2_b32 v[29:30], v25 offset0:106 offset1:184
	;; [unrolled: 1-line block ×4, first 2 shown]
	ds_read_b32 v37, v20
	ds_read_u16 v38, v22 offset:1562
	ds_read2_b32 v[33:34], v6 offset0:62 offset1:140
	s_waitcnt lgkmcnt(6)
	v_lshrrev_b32_e32 v43, 16, v18
	s_waitcnt lgkmcnt(4)
	v_lshrrev_b32_e32 v6, 16, v32
	;; [unrolled: 2-line block ×3, first 2 shown]
	v_lshrrev_b32_e32 v40, 16, v28
	s_waitcnt lgkmcnt(0)
	v_lshrrev_b32_e32 v41, 16, v33
	v_lshrrev_b32_e32 v42, 16, v34
	v_lshrrev_b32_e32 v44, 16, v19
	v_lshrrev_b32_e32 v45, 16, v29
	v_lshrrev_b32_e32 v46, 16, v30
	s_movk_i32 s0, 0x3abb
	s_movk_i32 s1, 0x36a6
	s_mov_b32 s4, 0xb08e
	s_mov_b32 s5, 0xb93d
	;; [unrolled: 1-line block ×3, first 2 shown]
	s_waitcnt vmcnt(0)
	s_barrier
	v_mul_f16_sdwa v47, v8, v43 dst_sel:DWORD dst_unused:UNUSED_PAD src0_sel:WORD_1 src1_sel:DWORD
	v_mul_f16_sdwa v48, v8, v18 dst_sel:DWORD dst_unused:UNUSED_PAD src0_sel:WORD_1 src1_sel:DWORD
	;; [unrolled: 1-line block ×4, first 2 shown]
	v_mul_f16_sdwa v55, v38, v12 dst_sel:DWORD dst_unused:UNUSED_PAD src0_sel:DWORD src1_sel:WORD_1
	v_mul_f16_sdwa v56, v12, v31 dst_sel:DWORD dst_unused:UNUSED_PAD src0_sel:WORD_1 src1_sel:DWORD
	v_mul_f16_sdwa v57, v6, v13 dst_sel:DWORD dst_unused:UNUSED_PAD src0_sel:DWORD src1_sel:WORD_1
	v_mul_f16_sdwa v58, v32, v13 dst_sel:DWORD dst_unused:UNUSED_PAD src0_sel:DWORD src1_sel:WORD_1
	;; [unrolled: 1-line block ×6, first 2 shown]
	v_fma_f16 v18, v8, v18, -v47
	v_fma_f16 v8, v8, v43, v48
	v_mul_f16_sdwa v51, v10, v45 dst_sel:DWORD dst_unused:UNUSED_PAD src0_sel:WORD_1 src1_sel:DWORD
	v_mul_f16_sdwa v52, v10, v29 dst_sel:DWORD dst_unused:UNUSED_PAD src0_sel:WORD_1 src1_sel:DWORD
	v_mul_f16_sdwa v60, v27, v14 dst_sel:DWORD dst_unused:UNUSED_PAD src0_sel:DWORD src1_sel:WORD_1
	v_mul_f16_sdwa v62, v28, v15 dst_sel:DWORD dst_unused:UNUSED_PAD src0_sel:DWORD src1_sel:WORD_1
	;; [unrolled: 1-line block ×4, first 2 shown]
	v_fma_f16 v19, v9, v19, -v49
	v_fma_f16 v9, v9, v44, v50
	v_fma_f16 v31, v12, v31, -v55
	v_fma_f16 v12, v38, v12, v56
	;; [unrolled: 2-line block ×3, first 2 shown]
	v_fma_f16 v13, v27, v14, -v59
	v_fma_f16 v27, v28, v15, -v61
	;; [unrolled: 1-line block ×4, first 2 shown]
	v_add_f16_e32 v34, v18, v37
	v_add_f16_sdwa v38, v8, v37 dst_sel:DWORD dst_unused:UNUSED_PAD src0_sel:DWORD src1_sel:WORD_1
	v_mul_f16_sdwa v53, v11, v46 dst_sel:DWORD dst_unused:UNUSED_PAD src0_sel:WORD_1 src1_sel:DWORD
	v_mul_f16_sdwa v54, v11, v30 dst_sel:DWORD dst_unused:UNUSED_PAD src0_sel:WORD_1 src1_sel:DWORD
	v_fma_f16 v29, v10, v29, -v51
	v_fma_f16 v10, v10, v45, v52
	v_add_f16_e32 v34, v34, v19
	v_add_f16_e32 v38, v38, v9
	v_fma_f16 v30, v11, v30, -v53
	v_fma_f16 v11, v11, v46, v54
	v_add_f16_e32 v34, v34, v29
	v_add_f16_e32 v38, v38, v10
	;; [unrolled: 1-line block ×6, first 2 shown]
	v_fma_f16 v14, v39, v14, v60
	v_add_f16_e32 v34, v34, v32
	v_add_f16_e32 v38, v38, v6
	v_fma_f16 v15, v40, v15, v62
	v_add_f16_e32 v34, v34, v13
	v_add_f16_e32 v38, v38, v14
	v_fma_f16 v16, v41, v16, v64
	v_fma_f16 v17, v42, v17, v66
	v_add_f16_e32 v34, v34, v27
	v_add_f16_e32 v38, v38, v15
	;; [unrolled: 1-line block ×4, first 2 shown]
	v_sub_f16_e32 v18, v18, v33
	v_sub_f16_e32 v8, v8, v17
	v_add_f16_e32 v34, v34, v28
	v_add_f16_e32 v38, v38, v16
	v_mul_f16_e32 v41, 0xb853, v8
	v_add_f16_e32 v33, v34, v33
	v_add_f16_e32 v34, v38, v17
	v_mul_f16_e32 v17, 0xb853, v18
	v_mul_f16_e32 v43, 0xbb47, v8
	v_mul_f16_e32 v45, 0xbb47, v18
	v_mul_f16_e32 v47, 0xbbeb, v8
	v_mul_f16_e32 v49, 0xbbeb, v18
	v_mul_f16_e32 v51, 0xba0c, v8
	v_mul_f16_e32 v53, 0xba0c, v18
	v_mul_f16_e32 v8, 0xb482, v8
	v_mul_f16_e32 v18, 0xb482, v18
	v_fma_f16 v42, v39, s0, -v41
	v_fma_f16 v38, v40, s0, v17
	v_fma_f16 v41, v39, s0, v41
	v_fma_f16 v17, v40, s0, -v17
	v_fma_f16 v44, v39, s1, -v43
	v_fma_f16 v46, v40, s1, v45
	v_fma_f16 v43, v39, s1, v43
	v_fma_f16 v45, v40, s1, -v45
	;; [unrolled: 4-line block ×5, first 2 shown]
	v_add_f16_e32 v39, v9, v16
	v_sub_f16_e32 v9, v9, v16
	v_add_f16_e32 v42, v42, v37
	v_add_f16_sdwa v38, v38, v37 dst_sel:DWORD dst_unused:UNUSED_PAD src0_sel:DWORD src1_sel:WORD_1
	v_add_f16_e32 v41, v41, v37
	v_add_f16_sdwa v17, v17, v37 dst_sel:DWORD dst_unused:UNUSED_PAD src0_sel:DWORD src1_sel:WORD_1
	;; [unrolled: 2-line block ×10, first 2 shown]
	v_add_f16_e32 v37, v19, v28
	v_sub_f16_e32 v19, v19, v28
	v_mul_f16_e32 v16, 0xbb47, v9
	v_fma_f16 v28, v37, s1, -v16
	v_mul_f16_e32 v40, 0xbb47, v19
	v_add_f16_e32 v28, v28, v42
	v_fma_f16 v42, v39, s1, v40
	v_fma_f16 v40, v39, s1, -v40
	v_fma_f16 v16, v37, s1, v16
	v_add_f16_e32 v17, v40, v17
	v_mul_f16_e32 v40, 0xba0c, v9
	v_add_f16_e32 v38, v42, v38
	v_add_f16_e32 v16, v16, v41
	v_fma_f16 v41, v37, s5, -v40
	v_mul_f16_e32 v42, 0xba0c, v19
	v_fma_f16 v40, v37, s5, v40
	v_add_f16_e32 v41, v41, v44
	v_fma_f16 v44, v39, s5, v42
	v_add_f16_e32 v40, v40, v43
	v_fma_f16 v42, v39, s5, -v42
	v_mul_f16_e32 v43, 0x3482, v9
	v_add_f16_e32 v44, v44, v46
	v_add_f16_e32 v42, v42, v45
	v_fma_f16 v45, v37, s6, -v43
	v_mul_f16_e32 v46, 0x3482, v19
	v_fma_f16 v43, v37, s6, v43
	v_add_f16_e32 v45, v45, v48
	v_fma_f16 v48, v39, s6, v46
	v_add_f16_e32 v43, v43, v47
	v_fma_f16 v46, v39, s6, -v46
	v_mul_f16_e32 v47, 0x3beb, v9
	v_add_f16_e32 v48, v48, v50
	v_add_f16_e32 v46, v46, v49
	v_fma_f16 v49, v37, s4, -v47
	v_mul_f16_e32 v50, 0x3beb, v19
	v_fma_f16 v47, v37, s4, v47
	v_mul_f16_e32 v9, 0x3853, v9
	v_add_f16_e32 v49, v49, v52
	v_fma_f16 v52, v39, s4, v50
	v_add_f16_e32 v47, v47, v51
	v_fma_f16 v50, v39, s4, -v50
	v_fma_f16 v51, v37, s0, -v9
	v_mul_f16_e32 v19, 0x3853, v19
	v_fma_f16 v9, v37, s0, v9
	v_add_f16_e32 v50, v50, v53
	v_fma_f16 v53, v39, s0, v19
	v_add_f16_e32 v8, v9, v8
	v_fma_f16 v9, v39, s0, -v19
	v_add_f16_e32 v19, v10, v15
	v_sub_f16_e32 v10, v10, v15
	v_add_f16_e32 v9, v9, v18
	v_add_f16_e32 v18, v29, v27
	v_mul_f16_e32 v15, 0xbbeb, v10
	v_sub_f16_e32 v27, v29, v27
	v_fma_f16 v29, v18, s4, -v15
	v_add_f16_e32 v28, v29, v28
	v_mul_f16_e32 v29, 0xbbeb, v27
	v_fma_f16 v15, v18, s4, v15
	v_add_f16_e32 v15, v15, v16
	v_fma_f16 v16, v19, s4, -v29
	v_add_f16_e32 v16, v16, v17
	v_mul_f16_e32 v17, 0x3482, v10
	v_fma_f16 v37, v19, s4, v29
	v_fma_f16 v29, v18, s6, -v17
	v_fma_f16 v17, v18, s6, v17
	v_add_f16_e32 v37, v37, v38
	v_mul_f16_e32 v38, 0x3482, v27
	v_add_f16_e32 v17, v17, v40
	v_mul_f16_e32 v40, 0x3b47, v10
	v_add_f16_e32 v29, v29, v41
	v_fma_f16 v39, v19, s6, v38
	v_fma_f16 v38, v19, s6, -v38
	v_fma_f16 v41, v18, s1, -v40
	v_fma_f16 v40, v18, s1, v40
	v_add_f16_e32 v38, v38, v42
	v_mul_f16_e32 v42, 0x3b47, v27
	v_add_f16_e32 v40, v40, v43
	v_mul_f16_e32 v43, 0xb853, v10
	v_add_f16_e32 v39, v39, v44
	v_add_f16_e32 v41, v41, v45
	v_fma_f16 v44, v19, s1, v42
	v_fma_f16 v42, v19, s1, -v42
	v_fma_f16 v45, v18, s0, -v43
	v_fma_f16 v43, v18, s0, v43
	v_mul_f16_e32 v10, 0xba0c, v10
	v_add_f16_e32 v42, v42, v46
	v_mul_f16_e32 v46, 0xb853, v27
	v_add_f16_e32 v43, v43, v47
	v_fma_f16 v47, v18, s5, -v10
	v_mul_f16_e32 v27, 0xba0c, v27
	v_fma_f16 v10, v18, s5, v10
	v_add_f16_e32 v8, v10, v8
	v_fma_f16 v10, v19, s5, -v27
	v_add_f16_e32 v18, v11, v14
	v_sub_f16_e32 v11, v11, v14
	v_add_f16_e32 v9, v10, v9
	v_add_f16_e32 v10, v30, v13
	v_sub_f16_e32 v13, v30, v13
	v_mul_f16_e32 v14, 0xba0c, v11
	v_add_f16_e32 v44, v44, v48
	v_add_f16_e32 v45, v45, v49
	v_fma_f16 v48, v19, s0, v46
	v_fma_f16 v46, v19, s0, -v46
	v_fma_f16 v49, v19, s5, v27
	v_fma_f16 v19, v10, s5, -v14
	v_mul_f16_e32 v27, 0xba0c, v13
	v_fma_f16 v14, v10, s5, v14
	v_add_f16_e32 v14, v14, v15
	v_fma_f16 v15, v18, s5, -v27
	v_add_f16_e32 v15, v15, v16
	v_mul_f16_e32 v16, 0x3beb, v11
	v_add_f16_e32 v19, v19, v28
	v_fma_f16 v28, v18, s5, v27
	v_fma_f16 v27, v10, s4, -v16
	v_add_f16_e32 v27, v27, v29
	v_mul_f16_e32 v29, 0x3beb, v13
	v_fma_f16 v16, v10, s4, v16
	v_add_f16_e32 v17, v16, v17
	v_fma_f16 v16, v18, s4, -v29
	v_fma_f16 v30, v18, s4, v29
	v_add_f16_e32 v29, v16, v38
	v_mul_f16_e32 v16, 0xb853, v11
	v_add_f16_e32 v28, v28, v37
	v_fma_f16 v37, v10, s0, -v16
	v_mul_f16_e32 v38, 0xb853, v13
	v_fma_f16 v16, v10, s0, v16
	v_add_f16_e32 v40, v16, v40
	v_fma_f16 v16, v18, s0, -v38
	v_add_f16_e32 v30, v30, v39
	v_fma_f16 v39, v18, s0, v38
	v_add_f16_e32 v38, v16, v42
	v_mul_f16_e32 v16, 0xb482, v11
	v_add_f16_e32 v37, v37, v41
	v_fma_f16 v41, v10, s6, -v16
	v_mul_f16_e32 v42, 0xb482, v13
	v_fma_f16 v16, v10, s6, v16
	v_add_f16_e32 v51, v51, v55
	v_add_f16_e32 v46, v46, v50
	;; [unrolled: 1-line block ×3, first 2 shown]
	v_fma_f16 v16, v18, s6, -v42
	v_mul_f16_e32 v11, 0x3b47, v11
	v_add_f16_e32 v47, v47, v51
	v_add_f16_e32 v39, v39, v44
	v_fma_f16 v44, v18, s6, v42
	v_add_f16_e32 v42, v16, v46
	v_fma_f16 v16, v10, s1, -v11
	v_add_f16_e32 v41, v41, v45
	v_add_f16_e32 v45, v16, v47
	v_mul_f16_e32 v13, 0x3b47, v13
	v_fma_f16 v10, v10, s1, v11
	v_add_f16_e32 v47, v12, v6
	v_sub_f16_e32 v12, v12, v6
	v_fma_f16 v16, v18, s1, v13
	v_add_f16_e32 v8, v10, v8
	v_fma_f16 v10, v18, s1, -v13
	v_add_f16_e32 v18, v31, v32
	v_mul_f16_e32 v6, 0xb482, v12
	v_add_f16_e32 v13, v10, v9
	v_sub_f16_e32 v31, v31, v32
	v_fma_f16 v9, v18, s6, -v6
	v_add_f16_e32 v53, v53, v56
	v_add_f16_e32 v32, v9, v19
	v_mul_f16_e32 v9, 0xb482, v31
	v_add_f16_e32 v49, v49, v53
	v_fma_f16 v10, v47, s6, v9
	v_fma_f16 v9, v47, s6, -v9
	v_add_f16_e32 v46, v16, v49
	v_add_f16_e32 v16, v9, v15
	v_mul_f16_e32 v9, 0x3853, v12
	v_add_f16_e32 v28, v10, v28
	v_fma_f16 v6, v18, s6, v6
	v_fma_f16 v10, v18, s0, -v9
	v_add_f16_e32 v6, v6, v14
	v_add_f16_e32 v14, v10, v27
	v_mul_f16_e32 v10, 0x3853, v31
	v_fma_f16 v11, v47, s0, v10
	v_fma_f16 v9, v18, s0, v9
	v_add_f16_e32 v15, v11, v30
	v_add_f16_e32 v11, v9, v17
	v_fma_f16 v9, v47, s0, -v10
	v_add_f16_e32 v17, v9, v29
	v_mul_f16_e32 v9, 0xba0c, v12
	v_fma_f16 v10, v18, s5, -v9
	v_mul_f16_e32 v19, 0xba0c, v31
	v_add_f16_e32 v29, v10, v37
	v_fma_f16 v10, v47, s5, v19
	v_fma_f16 v9, v18, s5, v9
	v_add_f16_e32 v30, v10, v39
	v_add_f16_e32 v10, v9, v40
	v_fma_f16 v9, v47, s5, -v19
	v_add_f16_e32 v19, v9, v38
	v_mul_f16_e32 v9, 0x3b47, v12
	v_fma_f16 v27, v18, s1, -v9
	v_mul_f16_e32 v12, 0xbbeb, v12
	v_add_f16_e32 v37, v27, v41
	v_mul_f16_e32 v27, 0x3b47, v31
	v_fma_f16 v39, v18, s4, -v12
	v_mul_f16_e32 v31, 0xbbeb, v31
	v_fma_f16 v12, v18, s4, v12
	v_add_f16_e32 v8, v12, v8
	v_fma_f16 v12, v47, s4, -v31
	v_add_f16_e32 v52, v52, v54
	v_fma_f16 v9, v18, s1, v9
	v_add_f16_e32 v18, v12, v13
	s_movk_i32 s0, 0x23c
	v_mov_b32_e32 v13, 2
	v_add_f16_e32 v48, v48, v52
	v_mad_u32_u24 v12, v35, s0, 0
	v_lshlrev_b32_sdwa v13, v13, v36 dst_sel:DWORD dst_unused:UNUSED_PAD src0_sel:DWORD src1_sel:BYTE_0
	v_add_f16_e32 v44, v44, v48
	v_fma_f16 v38, v47, s1, v27
	v_fma_f16 v40, v47, s4, v31
	v_add3_u32 v12, v12, v13, v24
	v_pack_b32_f16 v13, v33, v34
	v_pack_b32_f16 v24, v32, v28
	v_add_f16_e32 v38, v38, v44
	v_fma_f16 v27, v47, s1, -v27
	v_add_f16_e32 v39, v39, v45
	v_add_f16_e32 v40, v40, v46
	ds_write2_b32 v12, v13, v24 offset1:13
	v_pack_b32_f16 v13, v14, v15
	v_pack_b32_f16 v14, v29, v30
	v_add_f16_e32 v9, v9, v43
	v_add_f16_e32 v27, v27, v42
	ds_write2_b32 v12, v13, v14 offset0:26 offset1:39
	v_pack_b32_f16 v13, v37, v38
	v_pack_b32_f16 v14, v39, v40
	ds_write2_b32 v12, v13, v14 offset0:52 offset1:65
	v_pack_b32_f16 v13, v8, v18
	v_pack_b32_f16 v14, v9, v27
	;; [unrolled: 3-line block ×3, first 2 shown]
	ds_write2_b32 v12, v13, v14 offset0:104 offset1:117
	v_pack_b32_f16 v13, v6, v16
	ds_write_b32 v12, v13 offset:520
	s_waitcnt lgkmcnt(0)
	s_barrier
	ds_read2_b32 v[14:15], v25 offset0:15 offset1:158
	ds_read2_b32 v[12:13], v26 offset0:45 offset1:188
	ds_read_b32 v25, v20
	ds_read_b32 v26, v22 offset:2860
	s_movk_i32 s0, 0x41
	v_cmp_gt_u32_e64 s[0:1], s0, v5
	s_and_saveexec_b64 s[4:5], s[0:1]
	s_cbranch_execz .LBB0_16
; %bb.15:
	v_add_u32_e32 v6, 0x400, v22
	ds_read2_b32 v[10:11], v6 offset0:108 offset1:251
	v_add_u32_e32 v6, 0xa00, v22
	ds_read2_b32 v[8:9], v22 offset0:78 offset1:221
	ds_read2_b32 v[6:7], v6 offset0:10 offset1:153
	s_waitcnt lgkmcnt(2)
	v_lshrrev_b32_e32 v17, 16, v11
	v_lshrrev_b32_e32 v19, 16, v10
	s_waitcnt lgkmcnt(1)
	v_lshrrev_b32_e32 v18, 16, v8
	s_waitcnt lgkmcnt(0)
	v_lshrrev_b32_e32 v16, 16, v6
	v_lshrrev_b32_e32 v23, 16, v7
	;; [unrolled: 1-line block ×3, first 2 shown]
.LBB0_16:
	s_or_b64 exec, exec, s[4:5]
	v_mul_u32_u24_e32 v24, 5, v5
	v_lshlrev_b32_e32 v24, 2, v24
	global_load_dwordx4 v[28:31], v24, s[12:13] offset:520
	global_load_dword v32, v24, s[12:13] offset:536
	s_waitcnt lgkmcnt(0)
	v_lshrrev_b32_e32 v34, 16, v26
	v_lshrrev_b32_e32 v35, 16, v13
	v_lshrrev_b32_e32 v36, 16, v12
	v_lshrrev_b32_e32 v37, 16, v15
	v_lshrrev_b32_e32 v38, 16, v14
	v_lshrrev_b32_e32 v33, 16, v25
	s_movk_i32 s6, 0x3aee
	s_mov_b32 s7, 0xbaee
	v_add_u32_e32 v24, 0x400, v22
	s_waitcnt vmcnt(0)
	s_barrier
	v_mul_f16_sdwa v39, v28, v38 dst_sel:DWORD dst_unused:UNUSED_PAD src0_sel:WORD_1 src1_sel:DWORD
	v_mul_f16_sdwa v40, v28, v14 dst_sel:DWORD dst_unused:UNUSED_PAD src0_sel:WORD_1 src1_sel:DWORD
	;; [unrolled: 1-line block ×10, first 2 shown]
	v_fma_f16 v14, v28, v14, -v39
	v_fma_f16 v28, v28, v38, v40
	v_fma_f16 v15, v29, v15, -v41
	v_fma_f16 v29, v29, v37, v42
	;; [unrolled: 2-line block ×5, first 2 shown]
	v_sub_f16_e32 v36, v29, v31
	v_add_f16_e32 v37, v33, v29
	v_add_f16_e32 v29, v29, v31
	;; [unrolled: 1-line block ×3, first 2 shown]
	v_sub_f16_e32 v40, v30, v32
	v_add_f16_e32 v41, v28, v30
	v_add_f16_e32 v30, v30, v32
	;; [unrolled: 1-line block ×4, first 2 shown]
	v_sub_f16_e32 v15, v15, v13
	v_add_f16_e32 v38, v14, v12
	v_sub_f16_e32 v12, v12, v26
	v_fma_f16 v29, v29, -0.5, v33
	v_fma_f16 v14, v39, -0.5, v14
	;; [unrolled: 1-line block ×3, first 2 shown]
	v_add_f16_e32 v13, v34, v13
	v_fma_f16 v25, v35, -0.5, v25
	v_add_f16_e32 v31, v37, v31
	v_add_f16_e32 v26, v38, v26
	;; [unrolled: 1-line block ×3, first 2 shown]
	v_fma_f16 v33, v15, s7, v29
	v_fma_f16 v15, v15, s6, v29
	;; [unrolled: 1-line block ×8, first 2 shown]
	v_add_f16_e32 v28, v13, v26
	v_add_f16_e32 v35, v31, v32
	v_sub_f16_e32 v13, v13, v26
	v_sub_f16_e32 v26, v31, v32
	v_mul_f16_e32 v31, 0x3aee, v34
	v_mul_f16_e32 v36, 0xbaee, v29
	v_mul_f16_e32 v32, -0.5, v14
	v_mul_f16_e32 v37, -0.5, v12
	v_pack_b32_f16 v13, v13, v26
	v_fma_f16 v26, v29, 0.5, v31
	v_fma_f16 v29, v34, 0.5, v36
	v_fma_f16 v12, v12, s6, v32
	v_fma_f16 v14, v14, s7, v37
	v_add_f16_e32 v31, v30, v26
	v_add_f16_e32 v34, v33, v29
	v_pack_b32_f16 v28, v28, v35
	v_add_f16_e32 v32, v25, v12
	v_add_f16_e32 v35, v15, v14
	v_sub_f16_e32 v26, v30, v26
	v_sub_f16_e32 v12, v25, v12
	;; [unrolled: 1-line block ×4, first 2 shown]
	v_pack_b32_f16 v15, v31, v34
	v_pack_b32_f16 v29, v32, v35
	;; [unrolled: 1-line block ×4, first 2 shown]
	ds_write2_b32 v22, v28, v15 offset1:143
	ds_write2_b32 v24, v29, v13 offset0:30 offset1:173
	v_add_u32_e32 v13, 0x800, v22
	ds_write2_b32 v13, v25, v12 offset0:60 offset1:203
	s_and_saveexec_b64 s[4:5], s[0:1]
	s_cbranch_execz .LBB0_18
; %bb.17:
	v_add_u32_e32 v12, 0x4e, v5
	v_add_u32_e32 v13, 0xffffffbf, v5
	v_cndmask_b32_e64 v12, v13, v12, s[0:1]
	v_mul_i32_i24_e32 v12, 5, v12
	v_mov_b32_e32 v13, 0
	v_lshlrev_b64 v[12:13], 2, v[12:13]
	v_mov_b32_e32 v14, s13
	v_add_co_u32_e64 v25, s[0:1], s12, v12
	v_addc_co_u32_e64 v26, s[0:1], v14, v13, s[0:1]
	global_load_dwordx4 v[12:15], v[25:26], off offset:520
	global_load_dword v28, v[25:26], off offset:536
	v_add_u32_e32 v25, 0xa00, v22
	s_waitcnt vmcnt(1)
	v_mul_f16_sdwa v29, v16, v15 dst_sel:DWORD dst_unused:UNUSED_PAD src0_sel:DWORD src1_sel:WORD_1
	v_mul_f16_sdwa v31, v6, v15 dst_sel:DWORD dst_unused:UNUSED_PAD src0_sel:DWORD src1_sel:WORD_1
	;; [unrolled: 1-line block ×3, first 2 shown]
	s_waitcnt vmcnt(0)
	v_mul_f16_sdwa v34, v23, v28 dst_sel:DWORD dst_unused:UNUSED_PAD src0_sel:DWORD src1_sel:WORD_1
	v_mul_f16_sdwa v35, v11, v14 dst_sel:DWORD dst_unused:UNUSED_PAD src0_sel:DWORD src1_sel:WORD_1
	;; [unrolled: 1-line block ×7, first 2 shown]
	v_fma_f16 v6, v6, v15, -v29
	v_fma_f16 v15, v16, v15, v31
	v_fma_f16 v11, v11, v14, -v33
	v_fma_f16 v7, v7, v28, -v34
	v_fma_f16 v14, v17, v14, v35
	v_fma_f16 v16, v23, v28, v36
	v_fma_f16 v10, v10, v13, -v26
	v_fma_f16 v13, v19, v13, v30
	v_fma_f16 v9, v9, v12, -v32
	v_fma_f16 v12, v27, v12, v37
	v_add_f16_e32 v23, v11, v7
	v_add_f16_e32 v28, v14, v16
	v_sub_f16_e32 v17, v10, v6
	v_add_f16_e32 v19, v13, v15
	v_sub_f16_e32 v26, v14, v16
	v_sub_f16_e32 v27, v11, v7
	v_add_f16_e32 v29, v18, v13
	v_add_f16_e32 v14, v12, v14
	;; [unrolled: 1-line block ×5, first 2 shown]
	v_fma_f16 v9, v23, -0.5, v9
	v_fma_f16 v12, v28, -0.5, v12
	v_sub_f16_e32 v13, v13, v15
	v_fma_f16 v18, v19, -0.5, v18
	v_add_f16_e32 v15, v29, v15
	v_add_f16_e32 v14, v14, v16
	v_fma_f16 v8, v30, -0.5, v8
	v_add_f16_e32 v6, v10, v6
	v_add_f16_e32 v7, v11, v7
	v_fma_f16 v11, v26, s7, v9
	v_fma_f16 v16, v27, s6, v12
	;; [unrolled: 1-line block ×6, first 2 shown]
	v_sub_f16_e32 v18, v15, v14
	v_fma_f16 v19, v13, s7, v8
	v_fma_f16 v8, v13, s6, v8
	v_sub_f16_e32 v13, v6, v7
	v_add_f16_e32 v14, v15, v14
	v_add_f16_e32 v6, v6, v7
	v_mul_f16_e32 v7, -0.5, v16
	v_mul_f16_e32 v15, 0xbaee, v9
	v_mul_f16_e32 v26, 0x3aee, v12
	v_mul_f16_e32 v23, -0.5, v11
	v_fma_f16 v7, v11, s7, v7
	v_fma_f16 v11, v12, 0.5, v15
	v_fma_f16 v9, v9, 0.5, v26
	v_pack_b32_f16 v6, v6, v14
	v_pack_b32_f16 v13, v13, v18
	v_fma_f16 v12, v16, s6, v23
	v_sub_f16_e32 v14, v10, v7
	v_sub_f16_e32 v18, v8, v9
	v_add_f16_e32 v7, v10, v7
	v_add_f16_e32 v10, v17, v11
	;; [unrolled: 1-line block ×3, first 2 shown]
	v_sub_f16_e32 v15, v17, v11
	v_sub_f16_e32 v16, v19, v12
	v_add_f16_e32 v11, v19, v12
	v_pack_b32_f16 v8, v8, v10
	v_pack_b32_f16 v7, v11, v7
	;; [unrolled: 1-line block ×4, first 2 shown]
	ds_write2_b32 v22, v6, v8 offset0:78 offset1:221
	ds_write2_b32 v24, v7, v13 offset0:108 offset1:251
	;; [unrolled: 1-line block ×3, first 2 shown]
.LBB0_18:
	s_or_b64 exec, exec, s[4:5]
	s_waitcnt lgkmcnt(0)
	s_barrier
	ds_read_b32 v12, v20
	v_sub_u32_e32 v8, v0, v21
	v_cmp_ne_u32_e64 s[0:1], 0, v5
                                        ; implicit-def: $vgpr11
                                        ; implicit-def: $vgpr9
                                        ; implicit-def: $vgpr10
                                        ; implicit-def: $vgpr6_vgpr7
	s_and_saveexec_b64 s[4:5], s[0:1]
	s_xor_b64 s[4:5], exec, s[4:5]
	s_cbranch_execz .LBB0_20
; %bb.19:
	v_mov_b32_e32 v6, 0
	v_lshlrev_b64 v[9:10], 2, v[5:6]
	v_mov_b32_e32 v7, s13
	v_add_co_u32_e64 v9, s[0:1], s12, v9
	v_addc_co_u32_e64 v10, s[0:1], v7, v10, s[0:1]
	global_load_dword v7, v[9:10], off offset:3380
	ds_read_b32 v9, v8 offset:3432
	s_waitcnt lgkmcnt(0)
	v_add_f16_sdwa v10, v9, v12 dst_sel:DWORD dst_unused:UNUSED_PAD src0_sel:WORD_1 src1_sel:WORD_1
	v_sub_f16_e32 v13, v12, v9
	v_add_f16_e32 v11, v9, v12
	v_sub_f16_sdwa v9, v12, v9 dst_sel:DWORD dst_unused:UNUSED_PAD src0_sel:WORD_1 src1_sel:WORD_1
	v_mul_f16_e32 v12, 0.5, v10
	v_mul_f16_e32 v13, 0.5, v13
	;; [unrolled: 1-line block ×3, first 2 shown]
	s_waitcnt vmcnt(0)
	v_lshrrev_b32_e32 v10, 16, v7
	v_mul_f16_e32 v14, v10, v13
	v_fma_f16 v15, v12, v10, v9
	v_fma_f16 v9, v12, v10, -v9
	v_fma_f16 v16, v11, 0.5, v14
	v_fma_f16 v14, v11, 0.5, -v14
	v_fma_f16 v10, -v7, v13, v15
	v_fma_f16 v11, -v7, v13, v9
	v_fma_f16 v13, v7, v12, v16
	v_fma_f16 v9, -v7, v12, v14
	v_mov_b32_e32 v7, v6
	ds_write_b16 v20, v13
	v_mov_b32_e32 v6, v5
                                        ; implicit-def: $vgpr12
.LBB0_20:
	s_andn2_saveexec_b64 s[0:1], s[4:5]
	s_cbranch_execz .LBB0_22
; %bb.21:
	ds_read_u16 v10, v0 offset:1718
	s_waitcnt lgkmcnt(1)
	v_add_f16_sdwa v11, v12, v12 dst_sel:DWORD dst_unused:UNUSED_PAD src0_sel:WORD_1 src1_sel:DWORD
	v_mov_b32_e32 v6, 0
	v_sub_f16_sdwa v9, v12, v12 dst_sel:DWORD dst_unused:UNUSED_PAD src0_sel:DWORD src1_sel:WORD_1
	v_mov_b32_e32 v7, 0
	s_waitcnt lgkmcnt(0)
	v_xor_b32_e32 v10, 0x8000, v10
	ds_write_b16 v20, v11
	ds_write_b16 v0, v10 offset:1718
	v_mov_b32_e32 v10, 0
	v_mov_b32_e32 v11, 0
.LBB0_22:
	s_or_b64 exec, exec, s[0:1]
	s_add_u32 s0, s12, 0xd34
	v_lshlrev_b64 v[6:7], 2, v[6:7]
	s_addc_u32 s1, s13, 0
	s_waitcnt lgkmcnt(0)
	v_mov_b32_e32 v12, s1
	v_add_co_u32_e64 v6, s[0:1], s0, v6
	v_addc_co_u32_e64 v7, s[0:1], v12, v7, s[0:1]
	global_load_dword v12, v[6:7], off offset:312
	global_load_dword v13, v[6:7], off offset:624
	;; [unrolled: 1-line block ×3, first 2 shown]
	s_mov_b32 s0, 0x5040100
	v_perm_b32 v9, v11, v9, s0
	ds_write_b16 v20, v10 offset:2
	ds_write_b32 v8, v9 offset:3432
	ds_read_b32 v9, v20 offset:312
	ds_read_b32 v10, v8 offset:3120
	global_load_dword v11, v[6:7], off offset:1248
	s_mov_b32 s6, 0xffff
	v_cmp_gt_u32_e64 s[0:1], 39, v5
	s_waitcnt lgkmcnt(0)
	v_pk_add_f16 v15, v9, v10 neg_lo:[0,1] neg_hi:[0,1]
	v_pk_add_f16 v9, v9, v10
	v_bfi_b32 v10, s6, v15, v9
	v_bfi_b32 v9, s6, v9, v15
	v_pk_mul_f16 v10, v10, 0.5 op_sel_hi:[1,0]
	v_pk_mul_f16 v9, v9, 0.5 op_sel_hi:[1,0]
	s_waitcnt vmcnt(3)
	v_pk_fma_f16 v15, v12, v10, v9 op_sel:[1,0,0]
	v_pk_mul_f16 v16, v12, v10 op_sel_hi:[0,1]
	v_pk_fma_f16 v17, v12, v10, v9 op_sel:[1,0,0] neg_lo:[1,0,0] neg_hi:[1,0,0]
	v_pk_fma_f16 v9, v12, v10, v9 op_sel:[1,0,0] neg_lo:[0,0,1] neg_hi:[0,0,1]
	v_pk_add_f16 v10, v15, v16 op_sel:[0,1] op_sel_hi:[1,0]
	v_pk_add_f16 v12, v15, v16 op_sel:[0,1] op_sel_hi:[1,0] neg_lo:[0,1] neg_hi:[0,1]
	v_pk_add_f16 v15, v17, v16 op_sel:[0,1] op_sel_hi:[1,0] neg_lo:[0,1] neg_hi:[0,1]
	v_pk_add_f16 v9, v9, v16 op_sel:[0,1] op_sel_hi:[1,0] neg_lo:[0,1] neg_hi:[0,1]
	v_bfi_b32 v10, s6, v10, v12
	v_bfi_b32 v9, s6, v15, v9
	ds_write_b32 v20, v10 offset:312
	ds_write_b32 v8, v9 offset:3120
	ds_read_b32 v9, v20 offset:624
	ds_read_b32 v10, v8 offset:2808
	s_waitcnt lgkmcnt(0)
	v_pk_add_f16 v12, v9, v10 neg_lo:[0,1] neg_hi:[0,1]
	v_pk_add_f16 v9, v9, v10
	v_bfi_b32 v10, s6, v12, v9
	v_bfi_b32 v9, s6, v9, v12
	v_pk_mul_f16 v10, v10, 0.5 op_sel_hi:[1,0]
	v_pk_mul_f16 v9, v9, 0.5 op_sel_hi:[1,0]
	s_waitcnt vmcnt(2)
	v_pk_fma_f16 v12, v13, v10, v9 op_sel:[1,0,0]
	v_pk_mul_f16 v15, v13, v10 op_sel_hi:[0,1]
	v_pk_fma_f16 v16, v13, v10, v9 op_sel:[1,0,0] neg_lo:[1,0,0] neg_hi:[1,0,0]
	v_pk_fma_f16 v9, v13, v10, v9 op_sel:[1,0,0] neg_lo:[0,0,1] neg_hi:[0,0,1]
	v_pk_add_f16 v10, v12, v15 op_sel:[0,1] op_sel_hi:[1,0]
	v_pk_add_f16 v12, v12, v15 op_sel:[0,1] op_sel_hi:[1,0] neg_lo:[0,1] neg_hi:[0,1]
	v_pk_add_f16 v13, v16, v15 op_sel:[0,1] op_sel_hi:[1,0] neg_lo:[0,1] neg_hi:[0,1]
	v_pk_add_f16 v9, v9, v15 op_sel:[0,1] op_sel_hi:[1,0] neg_lo:[0,1] neg_hi:[0,1]
	v_bfi_b32 v10, s6, v10, v12
	v_bfi_b32 v9, s6, v13, v9
	ds_write_b32 v20, v10 offset:624
	ds_write_b32 v8, v9 offset:2808
	ds_read_b32 v9, v20 offset:936
	ds_read_b32 v10, v8 offset:2496
	;; [unrolled: 22-line block ×3, first 2 shown]
	s_waitcnt lgkmcnt(0)
	v_pk_add_f16 v12, v9, v10 neg_lo:[0,1] neg_hi:[0,1]
	v_pk_add_f16 v9, v9, v10
	v_bfi_b32 v10, s6, v12, v9
	v_bfi_b32 v9, s6, v9, v12
	v_pk_mul_f16 v10, v10, 0.5 op_sel_hi:[1,0]
	v_pk_mul_f16 v9, v9, 0.5 op_sel_hi:[1,0]
	s_waitcnt vmcnt(0)
	v_pk_fma_f16 v12, v11, v10, v9 op_sel:[1,0,0]
	v_pk_mul_f16 v13, v11, v10 op_sel_hi:[0,1]
	v_pk_fma_f16 v14, v11, v10, v9 op_sel:[1,0,0] neg_lo:[1,0,0] neg_hi:[1,0,0]
	v_pk_fma_f16 v9, v11, v10, v9 op_sel:[1,0,0] neg_lo:[0,0,1] neg_hi:[0,0,1]
	v_pk_add_f16 v10, v12, v13 op_sel:[0,1] op_sel_hi:[1,0]
	v_pk_add_f16 v11, v12, v13 op_sel:[0,1] op_sel_hi:[1,0] neg_lo:[0,1] neg_hi:[0,1]
	v_pk_add_f16 v12, v14, v13 op_sel:[0,1] op_sel_hi:[1,0] neg_lo:[0,1] neg_hi:[0,1]
	;; [unrolled: 1-line block ×3, first 2 shown]
	v_bfi_b32 v10, s6, v10, v11
	v_bfi_b32 v9, s6, v12, v9
	ds_write_b32 v20, v10 offset:1248
	ds_write_b32 v8, v9 offset:2184
	s_and_saveexec_b64 s[4:5], s[0:1]
	s_cbranch_execz .LBB0_24
; %bb.23:
	global_load_dword v6, v[6:7], off offset:1560
	ds_read_b32 v7, v20 offset:1560
	ds_read_b32 v9, v8 offset:1872
	s_waitcnt lgkmcnt(0)
	v_pk_add_f16 v10, v7, v9 neg_lo:[0,1] neg_hi:[0,1]
	v_pk_add_f16 v7, v7, v9
	v_bfi_b32 v9, s6, v10, v7
	v_bfi_b32 v7, s6, v7, v10
	v_pk_mul_f16 v9, v9, 0.5 op_sel_hi:[1,0]
	v_pk_mul_f16 v7, v7, 0.5 op_sel_hi:[1,0]
	s_waitcnt vmcnt(0)
	v_pk_fma_f16 v10, v6, v9, v7 op_sel:[1,0,0]
	v_pk_mul_f16 v11, v6, v9 op_sel_hi:[0,1]
	v_pk_fma_f16 v12, v6, v9, v7 op_sel:[1,0,0] neg_lo:[1,0,0] neg_hi:[1,0,0]
	v_pk_fma_f16 v6, v6, v9, v7 op_sel:[1,0,0] neg_lo:[0,0,1] neg_hi:[0,0,1]
	v_pk_add_f16 v7, v10, v11 op_sel:[0,1] op_sel_hi:[1,0]
	v_pk_add_f16 v9, v10, v11 op_sel:[0,1] op_sel_hi:[1,0] neg_lo:[0,1] neg_hi:[0,1]
	v_pk_add_f16 v10, v12, v11 op_sel:[0,1] op_sel_hi:[1,0] neg_lo:[0,1] neg_hi:[0,1]
	;; [unrolled: 1-line block ×3, first 2 shown]
	v_bfi_b32 v7, s6, v7, v9
	v_bfi_b32 v6, s6, v10, v6
	ds_write_b32 v20, v7 offset:1560
	ds_write_b32 v8, v6 offset:1872
.LBB0_24:
	s_or_b64 exec, exec, s[4:5]
	s_waitcnt lgkmcnt(0)
	s_barrier
	s_and_saveexec_b64 s[0:1], vcc
	s_cbranch_execz .LBB0_27
; %bb.25:
	v_mul_lo_u32 v6, s3, v3
	v_mul_lo_u32 v4, s2, v4
	v_mad_u64_u32 v[7:8], s[0:1], s2, v3, 0
	v_lshl_add_u32 v3, v5, 2, v0
	v_mov_b32_e32 v0, s11
	v_add3_u32 v8, v8, v4, v6
	v_lshlrev_b64 v[7:8], 2, v[7:8]
	v_mov_b32_e32 v6, 0
	v_add_co_u32_e32 v4, vcc, s10, v7
	v_addc_co_u32_e32 v7, vcc, v0, v8, vcc
	v_lshlrev_b64 v[0:1], 2, v[1:2]
	ds_read2_b32 v[9:10], v3 offset1:78
	v_add_co_u32_e32 v0, vcc, v4, v0
	v_addc_co_u32_e32 v1, vcc, v7, v1, vcc
	v_lshlrev_b64 v[7:8], 2, v[5:6]
	v_add_u32_e32 v2, 0x400, v3
	v_add_co_u32_e32 v7, vcc, v0, v7
	v_addc_co_u32_e32 v8, vcc, v1, v8, vcc
	s_waitcnt lgkmcnt(0)
	global_store_dword v[7:8], v9, off
	v_add_u32_e32 v7, 0x4e, v5
	v_mov_b32_e32 v8, v6
	v_lshlrev_b64 v[7:8], 2, v[7:8]
	s_movk_i32 s0, 0x4d
	v_add_co_u32_e32 v7, vcc, v0, v7
	v_addc_co_u32_e32 v8, vcc, v1, v8, vcc
	global_store_dword v[7:8], v10, off
	v_add_u32_e32 v7, 0x9c, v5
	v_mov_b32_e32 v8, v6
	ds_read2_b32 v[9:10], v3 offset0:156 offset1:234
	v_lshlrev_b64 v[7:8], 2, v[7:8]
	v_add_co_u32_e32 v7, vcc, v0, v7
	v_addc_co_u32_e32 v8, vcc, v1, v8, vcc
	s_waitcnt lgkmcnt(0)
	global_store_dword v[7:8], v9, off
	v_add_u32_e32 v7, 0xea, v5
	v_mov_b32_e32 v8, v6
	v_lshlrev_b64 v[7:8], 2, v[7:8]
	v_add_co_u32_e32 v7, vcc, v0, v7
	v_addc_co_u32_e32 v8, vcc, v1, v8, vcc
	global_store_dword v[7:8], v10, off
	v_add_u32_e32 v7, 0x138, v5
	v_mov_b32_e32 v8, v6
	ds_read2_b32 v[9:10], v2 offset0:56 offset1:134
	v_lshlrev_b64 v[7:8], 2, v[7:8]
	v_add_u32_e32 v2, 0x600, v3
	v_add_co_u32_e32 v7, vcc, v0, v7
	v_addc_co_u32_e32 v8, vcc, v1, v8, vcc
	s_waitcnt lgkmcnt(0)
	global_store_dword v[7:8], v9, off
	v_add_u32_e32 v7, 0x186, v5
	v_mov_b32_e32 v8, v6
	v_lshlrev_b64 v[7:8], 2, v[7:8]
	v_add_co_u32_e32 v7, vcc, v0, v7
	v_addc_co_u32_e32 v8, vcc, v1, v8, vcc
	global_store_dword v[7:8], v10, off
	v_add_u32_e32 v7, 0x1d4, v5
	v_mov_b32_e32 v8, v6
	ds_read2_b32 v[9:10], v2 offset0:84 offset1:162
	v_lshlrev_b64 v[7:8], 2, v[7:8]
	v_add_u32_e32 v2, 0x800, v3
	v_add_co_u32_e32 v7, vcc, v0, v7
	v_addc_co_u32_e32 v8, vcc, v1, v8, vcc
	s_waitcnt lgkmcnt(0)
	global_store_dword v[7:8], v9, off
	v_add_u32_e32 v7, 0x222, v5
	v_mov_b32_e32 v8, v6
	v_lshlrev_b64 v[7:8], 2, v[7:8]
	v_add_co_u32_e32 v7, vcc, v0, v7
	v_addc_co_u32_e32 v8, vcc, v1, v8, vcc
	global_store_dword v[7:8], v10, off
	v_add_u32_e32 v7, 0x270, v5
	v_mov_b32_e32 v8, v6
	ds_read2_b32 v[9:10], v2 offset0:112 offset1:190
	v_lshlrev_b64 v[7:8], 2, v[7:8]
	ds_read_b32 v2, v3 offset:3120
	v_add_co_u32_e32 v7, vcc, v0, v7
	v_addc_co_u32_e32 v8, vcc, v1, v8, vcc
	s_waitcnt lgkmcnt(1)
	global_store_dword v[7:8], v9, off
	v_add_u32_e32 v7, 0x2be, v5
	v_mov_b32_e32 v8, v6
	v_lshlrev_b64 v[7:8], 2, v[7:8]
	v_add_co_u32_e32 v7, vcc, v0, v7
	v_addc_co_u32_e32 v8, vcc, v1, v8, vcc
	global_store_dword v[7:8], v10, off
	v_add_u32_e32 v7, 0x30c, v5
	v_mov_b32_e32 v8, v6
	v_lshlrev_b64 v[6:7], 2, v[7:8]
	v_add_co_u32_e32 v6, vcc, v0, v6
	v_addc_co_u32_e32 v7, vcc, v1, v7, vcc
	v_cmp_eq_u32_e32 vcc, s0, v5
	s_waitcnt lgkmcnt(0)
	global_store_dword v[6:7], v2, off
	s_and_b64 exec, exec, vcc
	s_cbranch_execz .LBB0_27
; %bb.26:
	ds_read_b32 v2, v3 offset:3124
	s_waitcnt lgkmcnt(0)
	global_store_dword v[0:1], v2, off offset:3432
.LBB0_27:
	s_endpgm
	.section	.rodata,"a",@progbits
	.p2align	6, 0x0
	.amdhsa_kernel fft_rtc_fwd_len858_factors_13_11_6_wgs_234_tpt_78_halfLds_half_op_CI_CI_unitstride_sbrr_R2C_dirReg
		.amdhsa_group_segment_fixed_size 0
		.amdhsa_private_segment_fixed_size 0
		.amdhsa_kernarg_size 104
		.amdhsa_user_sgpr_count 6
		.amdhsa_user_sgpr_private_segment_buffer 1
		.amdhsa_user_sgpr_dispatch_ptr 0
		.amdhsa_user_sgpr_queue_ptr 0
		.amdhsa_user_sgpr_kernarg_segment_ptr 1
		.amdhsa_user_sgpr_dispatch_id 0
		.amdhsa_user_sgpr_flat_scratch_init 0
		.amdhsa_user_sgpr_private_segment_size 0
		.amdhsa_uses_dynamic_stack 0
		.amdhsa_system_sgpr_private_segment_wavefront_offset 0
		.amdhsa_system_sgpr_workgroup_id_x 1
		.amdhsa_system_sgpr_workgroup_id_y 0
		.amdhsa_system_sgpr_workgroup_id_z 0
		.amdhsa_system_sgpr_workgroup_info 0
		.amdhsa_system_vgpr_workitem_id 0
		.amdhsa_next_free_vgpr 89
		.amdhsa_next_free_sgpr 28
		.amdhsa_reserve_vcc 1
		.amdhsa_reserve_flat_scratch 0
		.amdhsa_float_round_mode_32 0
		.amdhsa_float_round_mode_16_64 0
		.amdhsa_float_denorm_mode_32 3
		.amdhsa_float_denorm_mode_16_64 3
		.amdhsa_dx10_clamp 1
		.amdhsa_ieee_mode 1
		.amdhsa_fp16_overflow 0
		.amdhsa_exception_fp_ieee_invalid_op 0
		.amdhsa_exception_fp_denorm_src 0
		.amdhsa_exception_fp_ieee_div_zero 0
		.amdhsa_exception_fp_ieee_overflow 0
		.amdhsa_exception_fp_ieee_underflow 0
		.amdhsa_exception_fp_ieee_inexact 0
		.amdhsa_exception_int_div_zero 0
	.end_amdhsa_kernel
	.text
.Lfunc_end0:
	.size	fft_rtc_fwd_len858_factors_13_11_6_wgs_234_tpt_78_halfLds_half_op_CI_CI_unitstride_sbrr_R2C_dirReg, .Lfunc_end0-fft_rtc_fwd_len858_factors_13_11_6_wgs_234_tpt_78_halfLds_half_op_CI_CI_unitstride_sbrr_R2C_dirReg
                                        ; -- End function
	.section	.AMDGPU.csdata,"",@progbits
; Kernel info:
; codeLenInByte = 10308
; NumSgprs: 32
; NumVgprs: 89
; ScratchSize: 0
; MemoryBound: 0
; FloatMode: 240
; IeeeMode: 1
; LDSByteSize: 0 bytes/workgroup (compile time only)
; SGPRBlocks: 3
; VGPRBlocks: 22
; NumSGPRsForWavesPerEU: 32
; NumVGPRsForWavesPerEU: 89
; Occupancy: 2
; WaveLimiterHint : 1
; COMPUTE_PGM_RSRC2:SCRATCH_EN: 0
; COMPUTE_PGM_RSRC2:USER_SGPR: 6
; COMPUTE_PGM_RSRC2:TRAP_HANDLER: 0
; COMPUTE_PGM_RSRC2:TGID_X_EN: 1
; COMPUTE_PGM_RSRC2:TGID_Y_EN: 0
; COMPUTE_PGM_RSRC2:TGID_Z_EN: 0
; COMPUTE_PGM_RSRC2:TIDIG_COMP_CNT: 0
	.type	__hip_cuid_2df10058a606aabd,@object ; @__hip_cuid_2df10058a606aabd
	.section	.bss,"aw",@nobits
	.globl	__hip_cuid_2df10058a606aabd
__hip_cuid_2df10058a606aabd:
	.byte	0                               ; 0x0
	.size	__hip_cuid_2df10058a606aabd, 1

	.ident	"AMD clang version 19.0.0git (https://github.com/RadeonOpenCompute/llvm-project roc-6.4.0 25133 c7fe45cf4b819c5991fe208aaa96edf142730f1d)"
	.section	".note.GNU-stack","",@progbits
	.addrsig
	.addrsig_sym __hip_cuid_2df10058a606aabd
	.amdgpu_metadata
---
amdhsa.kernels:
  - .args:
      - .actual_access:  read_only
        .address_space:  global
        .offset:         0
        .size:           8
        .value_kind:     global_buffer
      - .offset:         8
        .size:           8
        .value_kind:     by_value
      - .actual_access:  read_only
        .address_space:  global
        .offset:         16
        .size:           8
        .value_kind:     global_buffer
      - .actual_access:  read_only
        .address_space:  global
        .offset:         24
        .size:           8
        .value_kind:     global_buffer
      - .actual_access:  read_only
        .address_space:  global
        .offset:         32
        .size:           8
        .value_kind:     global_buffer
      - .offset:         40
        .size:           8
        .value_kind:     by_value
      - .actual_access:  read_only
        .address_space:  global
        .offset:         48
        .size:           8
        .value_kind:     global_buffer
      - .actual_access:  read_only
        .address_space:  global
        .offset:         56
        .size:           8
        .value_kind:     global_buffer
      - .offset:         64
        .size:           4
        .value_kind:     by_value
      - .actual_access:  read_only
        .address_space:  global
        .offset:         72
        .size:           8
        .value_kind:     global_buffer
      - .actual_access:  read_only
        .address_space:  global
        .offset:         80
        .size:           8
        .value_kind:     global_buffer
      - .actual_access:  read_only
        .address_space:  global
        .offset:         88
        .size:           8
        .value_kind:     global_buffer
      - .actual_access:  write_only
        .address_space:  global
        .offset:         96
        .size:           8
        .value_kind:     global_buffer
    .group_segment_fixed_size: 0
    .kernarg_segment_align: 8
    .kernarg_segment_size: 104
    .language:       OpenCL C
    .language_version:
      - 2
      - 0
    .max_flat_workgroup_size: 234
    .name:           fft_rtc_fwd_len858_factors_13_11_6_wgs_234_tpt_78_halfLds_half_op_CI_CI_unitstride_sbrr_R2C_dirReg
    .private_segment_fixed_size: 0
    .sgpr_count:     32
    .sgpr_spill_count: 0
    .symbol:         fft_rtc_fwd_len858_factors_13_11_6_wgs_234_tpt_78_halfLds_half_op_CI_CI_unitstride_sbrr_R2C_dirReg.kd
    .uniform_work_group_size: 1
    .uses_dynamic_stack: false
    .vgpr_count:     89
    .vgpr_spill_count: 0
    .wavefront_size: 64
amdhsa.target:   amdgcn-amd-amdhsa--gfx906
amdhsa.version:
  - 1
  - 2
...

	.end_amdgpu_metadata
